;; amdgpu-corpus repo=ROCm/rocSOLVER kind=compiled arch=gfx1250 opt=O3
	.amdgcn_target "amdgcn-amd-amdhsa--gfx1250"
	.amdhsa_code_object_version 6
	.section	.text._ZN9rocsolver6v33100L6iota_nIfEEvPT_jS2_,"axG",@progbits,_ZN9rocsolver6v33100L6iota_nIfEEvPT_jS2_,comdat
	.globl	_ZN9rocsolver6v33100L6iota_nIfEEvPT_jS2_ ; -- Begin function _ZN9rocsolver6v33100L6iota_nIfEEvPT_jS2_
	.p2align	8
	.type	_ZN9rocsolver6v33100L6iota_nIfEEvPT_jS2_,@function
_ZN9rocsolver6v33100L6iota_nIfEEvPT_jS2_: ; @_ZN9rocsolver6v33100L6iota_nIfEEvPT_jS2_
; %bb.0:
	s_load_b64 s[2:3], s[0:1], 0x8
	s_wait_kmcnt 0x0
	v_cmp_gt_u32_e32 vcc_lo, s2, v0
	s_and_saveexec_b32 s2, vcc_lo
	s_cbranch_execz .LBB0_2
; %bb.1:
	s_load_b64 s[0:1], s[0:1], 0x0
	v_cvt_f32_ubyte0_e32 v1, v0
	s_delay_alu instid0(VALU_DEP_1)
	v_add_f32_e32 v1, s3, v1
	s_wait_kmcnt 0x0
	global_store_b32 v0, v1, s[0:1] scale_offset
.LBB0_2:
	s_endpgm
	.section	.rodata,"a",@progbits
	.p2align	6, 0x0
	.amdhsa_kernel _ZN9rocsolver6v33100L6iota_nIfEEvPT_jS2_
		.amdhsa_group_segment_fixed_size 0
		.amdhsa_private_segment_fixed_size 0
		.amdhsa_kernarg_size 16
		.amdhsa_user_sgpr_count 2
		.amdhsa_user_sgpr_dispatch_ptr 0
		.amdhsa_user_sgpr_queue_ptr 0
		.amdhsa_user_sgpr_kernarg_segment_ptr 1
		.amdhsa_user_sgpr_dispatch_id 0
		.amdhsa_user_sgpr_kernarg_preload_length 0
		.amdhsa_user_sgpr_kernarg_preload_offset 0
		.amdhsa_user_sgpr_private_segment_size 0
		.amdhsa_wavefront_size32 1
		.amdhsa_uses_dynamic_stack 0
		.amdhsa_enable_private_segment 0
		.amdhsa_system_sgpr_workgroup_id_x 1
		.amdhsa_system_sgpr_workgroup_id_y 0
		.amdhsa_system_sgpr_workgroup_id_z 0
		.amdhsa_system_sgpr_workgroup_info 0
		.amdhsa_system_vgpr_workitem_id 0
		.amdhsa_next_free_vgpr 2
		.amdhsa_next_free_sgpr 4
		.amdhsa_named_barrier_count 0
		.amdhsa_reserve_vcc 1
		.amdhsa_float_round_mode_32 0
		.amdhsa_float_round_mode_16_64 0
		.amdhsa_float_denorm_mode_32 3
		.amdhsa_float_denorm_mode_16_64 3
		.amdhsa_fp16_overflow 0
		.amdhsa_memory_ordered 1
		.amdhsa_forward_progress 1
		.amdhsa_inst_pref_size 1
		.amdhsa_round_robin_scheduling 0
		.amdhsa_exception_fp_ieee_invalid_op 0
		.amdhsa_exception_fp_denorm_src 0
		.amdhsa_exception_fp_ieee_div_zero 0
		.amdhsa_exception_fp_ieee_overflow 0
		.amdhsa_exception_fp_ieee_underflow 0
		.amdhsa_exception_fp_ieee_inexact 0
		.amdhsa_exception_int_div_zero 0
	.end_amdhsa_kernel
	.section	.text._ZN9rocsolver6v33100L6iota_nIfEEvPT_jS2_,"axG",@progbits,_ZN9rocsolver6v33100L6iota_nIfEEvPT_jS2_,comdat
.Lfunc_end0:
	.size	_ZN9rocsolver6v33100L6iota_nIfEEvPT_jS2_, .Lfunc_end0-_ZN9rocsolver6v33100L6iota_nIfEEvPT_jS2_
                                        ; -- End function
	.set _ZN9rocsolver6v33100L6iota_nIfEEvPT_jS2_.num_vgpr, 2
	.set _ZN9rocsolver6v33100L6iota_nIfEEvPT_jS2_.num_agpr, 0
	.set _ZN9rocsolver6v33100L6iota_nIfEEvPT_jS2_.numbered_sgpr, 4
	.set _ZN9rocsolver6v33100L6iota_nIfEEvPT_jS2_.num_named_barrier, 0
	.set _ZN9rocsolver6v33100L6iota_nIfEEvPT_jS2_.private_seg_size, 0
	.set _ZN9rocsolver6v33100L6iota_nIfEEvPT_jS2_.uses_vcc, 1
	.set _ZN9rocsolver6v33100L6iota_nIfEEvPT_jS2_.uses_flat_scratch, 0
	.set _ZN9rocsolver6v33100L6iota_nIfEEvPT_jS2_.has_dyn_sized_stack, 0
	.set _ZN9rocsolver6v33100L6iota_nIfEEvPT_jS2_.has_recursion, 0
	.set _ZN9rocsolver6v33100L6iota_nIfEEvPT_jS2_.has_indirect_call, 0
	.section	.AMDGPU.csdata,"",@progbits
; Kernel info:
; codeLenInByte = 64
; TotalNumSgprs: 6
; NumVgprs: 2
; ScratchSize: 0
; MemoryBound: 0
; FloatMode: 240
; IeeeMode: 1
; LDSByteSize: 0 bytes/workgroup (compile time only)
; SGPRBlocks: 0
; VGPRBlocks: 0
; NumSGPRsForWavesPerEU: 6
; NumVGPRsForWavesPerEU: 2
; NamedBarCnt: 0
; Occupancy: 16
; WaveLimiterHint : 0
; COMPUTE_PGM_RSRC2:SCRATCH_EN: 0
; COMPUTE_PGM_RSRC2:USER_SGPR: 2
; COMPUTE_PGM_RSRC2:TRAP_HANDLER: 0
; COMPUTE_PGM_RSRC2:TGID_X_EN: 1
; COMPUTE_PGM_RSRC2:TGID_Y_EN: 0
; COMPUTE_PGM_RSRC2:TGID_Z_EN: 0
; COMPUTE_PGM_RSRC2:TIDIG_COMP_CNT: 0
	.section	.text._ZN9rocsolver6v33100L10reset_infoIiiiEEvPT_T0_T1_S4_,"axG",@progbits,_ZN9rocsolver6v33100L10reset_infoIiiiEEvPT_T0_T1_S4_,comdat
	.globl	_ZN9rocsolver6v33100L10reset_infoIiiiEEvPT_T0_T1_S4_ ; -- Begin function _ZN9rocsolver6v33100L10reset_infoIiiiEEvPT_T0_T1_S4_
	.p2align	8
	.type	_ZN9rocsolver6v33100L10reset_infoIiiiEEvPT_T0_T1_S4_,@function
_ZN9rocsolver6v33100L10reset_infoIiiiEEvPT_T0_T1_S4_: ; @_ZN9rocsolver6v33100L10reset_infoIiiiEEvPT_T0_T1_S4_
; %bb.0:
	s_clause 0x1
	s_load_b32 s2, s[0:1], 0x24
	s_load_b96 s[4:6], s[0:1], 0x8
	s_bfe_u32 s3, ttmp6, 0x4000c
	s_and_b32 s7, ttmp6, 15
	s_add_co_i32 s3, s3, 1
	s_getreg_b32 s8, hwreg(HW_REG_IB_STS2, 6, 4)
	s_mul_i32 s3, ttmp9, s3
	s_delay_alu instid0(SALU_CYCLE_1) | instskip(SKIP_4) | instid1(SALU_CYCLE_1)
	s_add_co_i32 s7, s7, s3
	s_wait_kmcnt 0x0
	s_and_b32 s2, s2, 0xffff
	s_cmp_eq_u32 s8, 0
	s_cselect_b32 s3, ttmp9, s7
	v_mad_u32 v0, s3, s2, v0
	s_mov_b32 s2, exec_lo
	s_delay_alu instid0(VALU_DEP_1)
	v_cmpx_gt_i32_e64 s4, v0
	s_cbranch_execz .LBB1_2
; %bb.1:
	s_load_b64 s[0:1], s[0:1], 0x0
	v_mad_u32 v1, v0, s6, s5
	s_wait_kmcnt 0x0
	global_store_b32 v0, v1, s[0:1] scale_offset
.LBB1_2:
	s_endpgm
	.section	.rodata,"a",@progbits
	.p2align	6, 0x0
	.amdhsa_kernel _ZN9rocsolver6v33100L10reset_infoIiiiEEvPT_T0_T1_S4_
		.amdhsa_group_segment_fixed_size 0
		.amdhsa_private_segment_fixed_size 0
		.amdhsa_kernarg_size 280
		.amdhsa_user_sgpr_count 2
		.amdhsa_user_sgpr_dispatch_ptr 0
		.amdhsa_user_sgpr_queue_ptr 0
		.amdhsa_user_sgpr_kernarg_segment_ptr 1
		.amdhsa_user_sgpr_dispatch_id 0
		.amdhsa_user_sgpr_kernarg_preload_length 0
		.amdhsa_user_sgpr_kernarg_preload_offset 0
		.amdhsa_user_sgpr_private_segment_size 0
		.amdhsa_wavefront_size32 1
		.amdhsa_uses_dynamic_stack 0
		.amdhsa_enable_private_segment 0
		.amdhsa_system_sgpr_workgroup_id_x 1
		.amdhsa_system_sgpr_workgroup_id_y 0
		.amdhsa_system_sgpr_workgroup_id_z 0
		.amdhsa_system_sgpr_workgroup_info 0
		.amdhsa_system_vgpr_workitem_id 0
		.amdhsa_next_free_vgpr 2
		.amdhsa_next_free_sgpr 9
		.amdhsa_named_barrier_count 0
		.amdhsa_reserve_vcc 0
		.amdhsa_float_round_mode_32 0
		.amdhsa_float_round_mode_16_64 0
		.amdhsa_float_denorm_mode_32 3
		.amdhsa_float_denorm_mode_16_64 3
		.amdhsa_fp16_overflow 0
		.amdhsa_memory_ordered 1
		.amdhsa_forward_progress 1
		.amdhsa_inst_pref_size 2
		.amdhsa_round_robin_scheduling 0
		.amdhsa_exception_fp_ieee_invalid_op 0
		.amdhsa_exception_fp_denorm_src 0
		.amdhsa_exception_fp_ieee_div_zero 0
		.amdhsa_exception_fp_ieee_overflow 0
		.amdhsa_exception_fp_ieee_underflow 0
		.amdhsa_exception_fp_ieee_inexact 0
		.amdhsa_exception_int_div_zero 0
	.end_amdhsa_kernel
	.section	.text._ZN9rocsolver6v33100L10reset_infoIiiiEEvPT_T0_T1_S4_,"axG",@progbits,_ZN9rocsolver6v33100L10reset_infoIiiiEEvPT_T0_T1_S4_,comdat
.Lfunc_end1:
	.size	_ZN9rocsolver6v33100L10reset_infoIiiiEEvPT_T0_T1_S4_, .Lfunc_end1-_ZN9rocsolver6v33100L10reset_infoIiiiEEvPT_T0_T1_S4_
                                        ; -- End function
	.set _ZN9rocsolver6v33100L10reset_infoIiiiEEvPT_T0_T1_S4_.num_vgpr, 2
	.set _ZN9rocsolver6v33100L10reset_infoIiiiEEvPT_T0_T1_S4_.num_agpr, 0
	.set _ZN9rocsolver6v33100L10reset_infoIiiiEEvPT_T0_T1_S4_.numbered_sgpr, 9
	.set _ZN9rocsolver6v33100L10reset_infoIiiiEEvPT_T0_T1_S4_.num_named_barrier, 0
	.set _ZN9rocsolver6v33100L10reset_infoIiiiEEvPT_T0_T1_S4_.private_seg_size, 0
	.set _ZN9rocsolver6v33100L10reset_infoIiiiEEvPT_T0_T1_S4_.uses_vcc, 0
	.set _ZN9rocsolver6v33100L10reset_infoIiiiEEvPT_T0_T1_S4_.uses_flat_scratch, 0
	.set _ZN9rocsolver6v33100L10reset_infoIiiiEEvPT_T0_T1_S4_.has_dyn_sized_stack, 0
	.set _ZN9rocsolver6v33100L10reset_infoIiiiEEvPT_T0_T1_S4_.has_recursion, 0
	.set _ZN9rocsolver6v33100L10reset_infoIiiiEEvPT_T0_T1_S4_.has_indirect_call, 0
	.section	.AMDGPU.csdata,"",@progbits
; Kernel info:
; codeLenInByte = 136
; TotalNumSgprs: 9
; NumVgprs: 2
; ScratchSize: 0
; MemoryBound: 0
; FloatMode: 240
; IeeeMode: 1
; LDSByteSize: 0 bytes/workgroup (compile time only)
; SGPRBlocks: 0
; VGPRBlocks: 0
; NumSGPRsForWavesPerEU: 9
; NumVGPRsForWavesPerEU: 2
; NamedBarCnt: 0
; Occupancy: 16
; WaveLimiterHint : 0
; COMPUTE_PGM_RSRC2:SCRATCH_EN: 0
; COMPUTE_PGM_RSRC2:USER_SGPR: 2
; COMPUTE_PGM_RSRC2:TRAP_HANDLER: 0
; COMPUTE_PGM_RSRC2:TGID_X_EN: 1
; COMPUTE_PGM_RSRC2:TGID_Y_EN: 0
; COMPUTE_PGM_RSRC2:TGID_Z_EN: 0
; COMPUTE_PGM_RSRC2:TIDIG_COMP_CNT: 0
	.section	.text._ZN9rocsolver6v33100L8set_zeroIfPKPfEEviiT0_iil13rocblas_fill_,"axG",@progbits,_ZN9rocsolver6v33100L8set_zeroIfPKPfEEviiT0_iil13rocblas_fill_,comdat
	.globl	_ZN9rocsolver6v33100L8set_zeroIfPKPfEEviiT0_iil13rocblas_fill_ ; -- Begin function _ZN9rocsolver6v33100L8set_zeroIfPKPfEEviiT0_iil13rocblas_fill_
	.p2align	8
	.type	_ZN9rocsolver6v33100L8set_zeroIfPKPfEEviiT0_iil13rocblas_fill_,@function
_ZN9rocsolver6v33100L8set_zeroIfPKPfEEviiT0_iil13rocblas_fill_: ; @_ZN9rocsolver6v33100L8set_zeroIfPKPfEEviiT0_iil13rocblas_fill_
; %bb.0:
	s_clause 0x1
	s_load_b32 s2, s[0:1], 0x34
	s_load_b64 s[4:5], s[0:1], 0x0
	s_bfe_u32 s7, ttmp6, 0x40010
	s_bfe_u32 s10, ttmp6, 0x4000c
	s_and_b32 s6, ttmp7, 0xffff
	s_add_co_i32 s7, s7, 1
	s_add_co_i32 s10, s10, 1
	s_bfe_u32 s8, ttmp6, 0x40004
	s_and_b32 s9, ttmp6, 15
	s_mul_i32 s7, s6, s7
	s_mul_i32 s10, ttmp9, s10
	s_getreg_b32 s3, hwreg(HW_REG_IB_STS2, 6, 4)
	v_and_b32_e32 v1, 0x3ff, v0
	v_bfe_u32 v2, v0, 10, 10
	s_add_co_i32 s8, s8, s7
	s_add_co_i32 s9, s9, s10
	s_wait_kmcnt 0x0
	s_lshr_b32 s7, s2, 16
	s_and_b32 s2, s2, 0xffff
	s_cmp_eq_u32 s3, 0
	s_cselect_b32 s9, ttmp9, s9
	s_cselect_b32 s6, s6, s8
	v_mad_u32 v0, s9, s2, v1
	v_mad_u32 v1, s6, s7, v2
	s_delay_alu instid0(VALU_DEP_2) | instskip(NEXT) | instid1(VALU_DEP_2)
	v_cmp_gt_u32_e32 vcc_lo, s4, v0
	v_cmp_gt_u32_e64 s2, s5, v1
	s_and_b32 s2, vcc_lo, s2
	s_delay_alu instid0(SALU_CYCLE_1)
	s_and_saveexec_b32 s4, s2
	s_cbranch_execz .LBB2_12
; %bb.1:
	s_load_b32 s4, s[0:1], 0x20
	s_wait_kmcnt 0x0
	s_cmp_lt_i32 s4, 0x7a
	s_cbranch_scc1 .LBB2_4
; %bb.2:
	s_cmp_gt_i32 s4, 0x7a
	s_cbranch_scc0 .LBB2_5
; %bb.3:
	s_cmp_eq_u32 s4, 0x7b
	s_cselect_b32 s2, -1, 0
	s_cbranch_execz .LBB2_6
	s_branch .LBB2_7
.LBB2_4:
	s_mov_b32 s2, 0
	s_cbranch_execnz .LBB2_8
	s_branch .LBB2_10
.LBB2_5:
	s_mov_b32 s2, 0
.LBB2_6:
	v_cmp_gt_u32_e32 vcc_lo, v1, v0
	s_and_not1_b32 s2, s2, exec_lo
	s_and_b32 s5, vcc_lo, exec_lo
	s_delay_alu instid0(SALU_CYCLE_1)
	s_or_b32 s2, s2, s5
.LBB2_7:
	s_branch .LBB2_10
.LBB2_8:
	s_cmp_eq_u32 s4, 0x79
	s_cbranch_scc0 .LBB2_10
; %bb.9:
	v_cmp_gt_u32_e32 vcc_lo, v0, v1
	s_and_not1_b32 s2, s2, exec_lo
	s_and_b32 s4, vcc_lo, exec_lo
	s_delay_alu instid0(SALU_CYCLE_1)
	s_or_b32 s2, s2, s4
.LBB2_10:
	s_delay_alu instid0(SALU_CYCLE_1)
	s_and_b32 exec_lo, exec_lo, s2
	s_cbranch_execz .LBB2_12
; %bb.11:
	s_load_b128 s[4:7], s[0:1], 0x8
	s_wait_xcnt 0x0
	s_bfe_u32 s0, ttmp6, 0x40014
	s_lshr_b32 s2, ttmp7, 16
	s_add_co_i32 s0, s0, 1
	s_bfe_u32 s8, ttmp6, 0x40008
	s_mul_i32 s0, s2, s0
	s_delay_alu instid0(SALU_CYCLE_1)
	s_add_co_i32 s8, s8, s0
	s_wait_kmcnt 0x0
	s_ashr_i32 s1, s6, 31
	s_cmp_eq_u32 s3, 0
	v_mad_u32 v0, v1, s7, v0
	s_cselect_b32 s0, s2, s8
	v_mov_b32_e32 v1, 0
	s_load_b64 s[2:3], s[4:5], s0 offset:0x0 scale_offset
	s_wait_xcnt 0x0
	s_mov_b32 s0, s6
	s_delay_alu instid0(SALU_CYCLE_1)
	s_lshl_b64 s[0:1], s[0:1], 2
	s_wait_kmcnt 0x0
	s_add_nc_u64 s[0:1], s[2:3], s[0:1]
	flat_store_b32 v0, v1, s[0:1] scale_offset
.LBB2_12:
	s_endpgm
	.section	.rodata,"a",@progbits
	.p2align	6, 0x0
	.amdhsa_kernel _ZN9rocsolver6v33100L8set_zeroIfPKPfEEviiT0_iil13rocblas_fill_
		.amdhsa_group_segment_fixed_size 0
		.amdhsa_private_segment_fixed_size 0
		.amdhsa_kernarg_size 296
		.amdhsa_user_sgpr_count 2
		.amdhsa_user_sgpr_dispatch_ptr 0
		.amdhsa_user_sgpr_queue_ptr 0
		.amdhsa_user_sgpr_kernarg_segment_ptr 1
		.amdhsa_user_sgpr_dispatch_id 0
		.amdhsa_user_sgpr_kernarg_preload_length 0
		.amdhsa_user_sgpr_kernarg_preload_offset 0
		.amdhsa_user_sgpr_private_segment_size 0
		.amdhsa_wavefront_size32 1
		.amdhsa_uses_dynamic_stack 0
		.amdhsa_enable_private_segment 0
		.amdhsa_system_sgpr_workgroup_id_x 1
		.amdhsa_system_sgpr_workgroup_id_y 1
		.amdhsa_system_sgpr_workgroup_id_z 1
		.amdhsa_system_sgpr_workgroup_info 0
		.amdhsa_system_vgpr_workitem_id 1
		.amdhsa_next_free_vgpr 3
		.amdhsa_next_free_sgpr 11
		.amdhsa_named_barrier_count 0
		.amdhsa_reserve_vcc 1
		.amdhsa_float_round_mode_32 0
		.amdhsa_float_round_mode_16_64 0
		.amdhsa_float_denorm_mode_32 3
		.amdhsa_float_denorm_mode_16_64 3
		.amdhsa_fp16_overflow 0
		.amdhsa_memory_ordered 1
		.amdhsa_forward_progress 1
		.amdhsa_inst_pref_size 4
		.amdhsa_round_robin_scheduling 0
		.amdhsa_exception_fp_ieee_invalid_op 0
		.amdhsa_exception_fp_denorm_src 0
		.amdhsa_exception_fp_ieee_div_zero 0
		.amdhsa_exception_fp_ieee_overflow 0
		.amdhsa_exception_fp_ieee_underflow 0
		.amdhsa_exception_fp_ieee_inexact 0
		.amdhsa_exception_int_div_zero 0
	.end_amdhsa_kernel
	.section	.text._ZN9rocsolver6v33100L8set_zeroIfPKPfEEviiT0_iil13rocblas_fill_,"axG",@progbits,_ZN9rocsolver6v33100L8set_zeroIfPKPfEEviiT0_iil13rocblas_fill_,comdat
.Lfunc_end2:
	.size	_ZN9rocsolver6v33100L8set_zeroIfPKPfEEviiT0_iil13rocblas_fill_, .Lfunc_end2-_ZN9rocsolver6v33100L8set_zeroIfPKPfEEviiT0_iil13rocblas_fill_
                                        ; -- End function
	.set _ZN9rocsolver6v33100L8set_zeroIfPKPfEEviiT0_iil13rocblas_fill_.num_vgpr, 3
	.set _ZN9rocsolver6v33100L8set_zeroIfPKPfEEviiT0_iil13rocblas_fill_.num_agpr, 0
	.set _ZN9rocsolver6v33100L8set_zeroIfPKPfEEviiT0_iil13rocblas_fill_.numbered_sgpr, 11
	.set _ZN9rocsolver6v33100L8set_zeroIfPKPfEEviiT0_iil13rocblas_fill_.num_named_barrier, 0
	.set _ZN9rocsolver6v33100L8set_zeroIfPKPfEEviiT0_iil13rocblas_fill_.private_seg_size, 0
	.set _ZN9rocsolver6v33100L8set_zeroIfPKPfEEviiT0_iil13rocblas_fill_.uses_vcc, 1
	.set _ZN9rocsolver6v33100L8set_zeroIfPKPfEEviiT0_iil13rocblas_fill_.uses_flat_scratch, 0
	.set _ZN9rocsolver6v33100L8set_zeroIfPKPfEEviiT0_iil13rocblas_fill_.has_dyn_sized_stack, 0
	.set _ZN9rocsolver6v33100L8set_zeroIfPKPfEEviiT0_iil13rocblas_fill_.has_recursion, 0
	.set _ZN9rocsolver6v33100L8set_zeroIfPKPfEEviiT0_iil13rocblas_fill_.has_indirect_call, 0
	.section	.AMDGPU.csdata,"",@progbits
; Kernel info:
; codeLenInByte = 440
; TotalNumSgprs: 13
; NumVgprs: 3
; ScratchSize: 0
; MemoryBound: 0
; FloatMode: 240
; IeeeMode: 1
; LDSByteSize: 0 bytes/workgroup (compile time only)
; SGPRBlocks: 0
; VGPRBlocks: 0
; NumSGPRsForWavesPerEU: 13
; NumVGPRsForWavesPerEU: 3
; NamedBarCnt: 0
; Occupancy: 16
; WaveLimiterHint : 1
; COMPUTE_PGM_RSRC2:SCRATCH_EN: 0
; COMPUTE_PGM_RSRC2:USER_SGPR: 2
; COMPUTE_PGM_RSRC2:TRAP_HANDLER: 0
; COMPUTE_PGM_RSRC2:TGID_X_EN: 1
; COMPUTE_PGM_RSRC2:TGID_Y_EN: 1
; COMPUTE_PGM_RSRC2:TGID_Z_EN: 1
; COMPUTE_PGM_RSRC2:TIDIG_COMP_CNT: 1
	.section	.text._ZN9rocsolver6v33100L18geqr2_kernel_smallILi256EfifPKPfEEvT1_S5_T3_lS5_lPT2_lPT0_l,"axG",@progbits,_ZN9rocsolver6v33100L18geqr2_kernel_smallILi256EfifPKPfEEvT1_S5_T3_lS5_lPT2_lPT0_l,comdat
	.globl	_ZN9rocsolver6v33100L18geqr2_kernel_smallILi256EfifPKPfEEvT1_S5_T3_lS5_lPT2_lPT0_l ; -- Begin function _ZN9rocsolver6v33100L18geqr2_kernel_smallILi256EfifPKPfEEvT1_S5_T3_lS5_lPT2_lPT0_l
	.p2align	8
	.type	_ZN9rocsolver6v33100L18geqr2_kernel_smallILi256EfifPKPfEEvT1_S5_T3_lS5_lPT2_lPT0_l,@function
_ZN9rocsolver6v33100L18geqr2_kernel_smallILi256EfifPKPfEEvT1_S5_T3_lS5_lPT2_lPT0_l: ; @_ZN9rocsolver6v33100L18geqr2_kernel_smallILi256EfifPKPfEEvT1_S5_T3_lS5_lPT2_lPT0_l
; %bb.0:
	s_clause 0x1
	s_load_b128 s[4:7], s[0:1], 0x8
	s_load_b64 s[12:13], s[0:1], 0x0
	s_bfe_u32 s2, ttmp6, 0x40014
	s_lshr_b32 s3, ttmp7, 16
	s_add_co_i32 s2, s2, 1
	s_bfe_u32 s8, ttmp6, 0x40008
	s_mul_i32 s2, s3, s2
	s_getreg_b32 s9, hwreg(HW_REG_IB_STS2, 6, 4)
	s_add_co_i32 s8, s8, s2
	s_cmp_eq_u32 s9, 0
	v_and_b32_e32 v1, 0x7f, v0
	s_cselect_b32 s18, s3, s8
	v_lshrrev_b32_e32 v2, 7, v0
	s_mov_b32 s19, 0
	s_wait_kmcnt 0x0
	s_load_b64 s[8:9], s[4:5], s18 offset:0x0 scale_offset
	s_load_b32 s20, s[0:1], 0x18
	v_cmp_gt_i32_e64 s2, s12, v1
	v_lshlrev_b32_e32 v3, 2, v1
	s_wait_xcnt 0x0
	s_lshl_b64 s[4:5], s[6:7], 2
	s_wait_kmcnt 0x0
	s_add_nc_u64 s[14:15], s[8:9], s[4:5]
	s_and_saveexec_b32 s4, s2
	s_cbranch_execz .LBB3_6
; %bb.1:
	v_dual_mov_b32 v7, v1 :: v_dual_lshrrev_b32 v4, 7, v0
	s_lshl_b32 s5, s12, 3
	s_lshl_b32 s6, s20, 1
	s_mov_b32 s7, s19
	s_delay_alu instid0(VALU_DEP_1) | instskip(NEXT) | instid1(VALU_DEP_1)
	v_mul_lo_u32 v6, s12, v4
	v_lshlrev_b32_e32 v6, 2, v6
	v_mad_u32 v5, s20, v4, v1
	v_cmp_gt_i32_e32 vcc_lo, s13, v4
	s_delay_alu instid0(VALU_DEP_3)
	v_add3_u32 v6, v6, v3, 0
	s_branch .LBB3_3
.LBB3_2:                                ;   in Loop: Header=BB3_3 Depth=1
	s_or_b32 exec_lo, exec_lo, s8
	v_add_nc_u32_e32 v7, 0x80, v7
	v_add_nc_u32_e32 v6, 0x200, v6
	;; [unrolled: 1-line block ×3, first 2 shown]
	s_delay_alu instid0(VALU_DEP_3) | instskip(SKIP_1) | instid1(SALU_CYCLE_1)
	v_cmp_le_i32_e64 s3, s12, v7
	s_or_b32 s7, s3, s7
	s_and_not1_b32 exec_lo, exec_lo, s7
	s_cbranch_execz .LBB3_6
.LBB3_3:                                ; =>This Loop Header: Depth=1
                                        ;     Child Loop BB3_5 Depth 2
	s_and_saveexec_b32 s8, vcc_lo
	s_cbranch_execz .LBB3_2
; %bb.4:                                ;   in Loop: Header=BB3_3 Depth=1
	s_delay_alu instid0(VALU_DEP_1)
	v_dual_mov_b32 v8, v5 :: v_dual_mov_b32 v9, v6
	v_mov_b32_e32 v10, v4
	s_mov_b32 s9, 0
.LBB3_5:                                ;   Parent Loop BB3_3 Depth=1
                                        ; =>  This Inner Loop Header: Depth=2
	flat_load_b32 v11, v8, s[14:15] scale_offset
	s_wait_xcnt 0x0
	v_dual_add_nc_u32 v10, 2, v10 :: v_dual_add_nc_u32 v8, s6, v8
	s_delay_alu instid0(VALU_DEP_1)
	v_cmp_le_i32_e64 s3, s13, v10
	s_or_b32 s9, s3, s9
	s_wait_loadcnt_dscnt 0x0
	ds_store_b32 v9, v11
	v_add_nc_u32_e32 v9, s5, v9
	s_and_not1_b32 exec_lo, exec_lo, s9
	s_cbranch_execnz .LBB3_5
	s_branch .LBB3_2
.LBB3_6:
	s_or_b32 exec_lo, exec_lo, s4
	s_min_i32 s21, s13, s12
	s_wait_dscnt 0x0
	s_cmp_lt_i32 s21, 1
	s_barrier_signal -1
	s_barrier_wait -1
	s_cbranch_scc1 .LBB3_43
; %bb.7:
	v_mbcnt_lo_u32_b32 v8, -1, 0
	s_load_b256 s[4:11], s[0:1], 0x28
	s_wait_xcnt 0x0
	s_mul_i32 s0, s13, s12
	s_lshl_b32 s1, s13, 2
	s_lshl_b32 s0, s0, 2
	v_cmp_ne_u32_e32 vcc_lo, 31, v8
	s_add_co_i32 s22, s0, 0
	v_mad_u32 v10, s12, v0, s12
	s_add_co_i32 s23, s22, s1
	v_dual_lshrrev_b32 v12, 3, v0 :: v_dual_bitop2_b32 v9, 31, v0 bitop3:0x40
	v_add_co_ci_u32_e64 v4, null, 0, v8, vcc_lo
	v_cmp_gt_u32_e32 vcc_lo, 30, v8
	v_lshlrev_b32_e32 v11, 2, v0
	s_delay_alu instid0(VALU_DEP_4) | instskip(NEXT) | instid1(VALU_DEP_4)
	v_add_nc_u32_e32 v12, s23, v12
	v_dual_mov_b32 v13, 0 :: v_dual_lshlrev_b32 v4, 2, v4
	v_cndmask_b32_e64 v5, 0, 2, vcc_lo
	v_cmp_gt_u32_e32 vcc_lo, 28, v8
	v_lshl_add_u32 v10, v10, 2, 0
	s_wait_kmcnt 0x0
	s_mul_u64 s[0:1], s[6:7], s[18:19]
	s_mul_u64 s[6:7], s[10:11], s[18:19]
	s_lshl_b64 s[0:1], s[0:1], 2
	v_cndmask_b32_e64 v6, 0, 4, vcc_lo
	v_cmp_gt_u32_e32 vcc_lo, 24, v8
	s_lshl_b64 s[10:11], s[6:7], 2
	s_cmp_eq_u64 s[4:5], 0
	s_add_nc_u64 s[8:9], s[8:9], s[10:11]
	s_cselect_b32 s10, -1, 0
	v_cndmask_b32_e64 v7, 0, 8, vcc_lo
	s_cmp_lg_u64 s[4:5], 0
	s_add_nc_u64 s[6:7], s[4:5], s[0:1]
	s_cselect_b32 s5, -1, 0
	s_lshl_b32 s11, s12, 2
	v_add_lshl_u32 v5, v5, v8, 2
	v_add_lshl_u32 v6, v6, v8, 2
	;; [unrolled: 1-line block ×3, first 2 shown]
	v_lshl_or_b32 v8, v8, 2, 64
	v_cmp_eq_u32_e64 s0, 0, v9
	v_cmp_eq_u32_e64 s1, 0, v0
	v_add3_u32 v9, v11, 0, 4
	v_add3_u32 v11, 0, s11, v11
	s_mov_b32 s17, 0
	s_add_co_i32 s18, s11, 4
	s_lshl_b32 s19, s12, 10
	s_mov_b32 s24, 0
	s_mov_b32 s25, s13
	;; [unrolled: 1-line block ×4, first 2 shown]
	s_branch .LBB3_9
.LBB3_8:                                ;   in Loop: Header=BB3_9 Depth=1
	s_or_b32 exec_lo, exec_lo, s4
	v_dual_add_nc_u32 v9, s18, v9 :: v_dual_add_nc_u32 v10, s18, v10
	v_add_nc_u32_e32 v11, s18, v11
	s_add_co_i32 s16, s16, 1
	s_add_co_i32 s25, s25, -1
	s_add_co_i32 s26, s26, -1
	s_add_co_i32 s24, s24, s18
	s_cmp_eq_u32 s16, s21
	s_wait_dscnt 0x0
	s_barrier_signal -1
	s_barrier_wait -1
	s_cbranch_scc1 .LBB3_43
.LBB3_9:                                ; =>This Loop Header: Depth=1
                                        ;     Child Loop BB3_11 Depth 2
                                        ;     Child Loop BB3_24 Depth 2
	;; [unrolled: 1-line block ×3, first 2 shown]
                                        ;       Child Loop BB3_30 Depth 3
                                        ;     Child Loop BB3_34 Depth 2
                                        ;       Child Loop BB3_36 Depth 3
	s_sub_co_i32 s27, s12, s16
	v_mov_b32_e32 v14, 0
	s_add_co_i32 s29, s27, -1
	s_delay_alu instid0(SALU_CYCLE_1)
	v_cmp_gt_i32_e64 s3, s29, v0
	s_and_saveexec_b32 s4, s3
	s_cbranch_execz .LBB3_13
; %bb.10:                               ;   in Loop: Header=BB3_9 Depth=1
	v_dual_mov_b32 v14, 0 :: v_dual_mov_b32 v15, v9
	v_mov_b32_e32 v16, v0
	s_mov_b32 s28, 0
.LBB3_11:                               ;   Parent Loop BB3_9 Depth=1
                                        ; =>  This Inner Loop Header: Depth=2
	ds_load_b32 v17, v15
	v_add_nc_u32_e32 v16, 0x100, v16
	v_add_nc_u32_e32 v15, 0x400, v15
	s_delay_alu instid0(VALU_DEP_2)
	v_cmp_le_i32_e32 vcc_lo, s29, v16
	s_or_b32 s28, vcc_lo, s28
	s_wait_dscnt 0x0
	v_fmac_f32_e32 v14, v17, v17
	s_and_not1_b32 exec_lo, exec_lo, s28
	s_cbranch_execnz .LBB3_11
; %bb.12:                               ;   in Loop: Header=BB3_9 Depth=1
	s_or_b32 exec_lo, exec_lo, s28
.LBB3_13:                               ;   in Loop: Header=BB3_9 Depth=1
	s_delay_alu instid0(SALU_CYCLE_1)
	s_or_b32 exec_lo, exec_lo, s4
	ds_bpermute_b32 v15, v4, v14
	s_wait_dscnt 0x0
	v_add_f32_e32 v14, v14, v15
	ds_bpermute_b32 v15, v5, v14
	s_wait_dscnt 0x0
	v_add_f32_e32 v14, v14, v15
	;; [unrolled: 3-line block ×5, first 2 shown]
	s_and_saveexec_b32 s4, s0
; %bb.14:                               ;   in Loop: Header=BB3_9 Depth=1
	ds_store_b32 v12, v14 offset:4
; %bb.15:                               ;   in Loop: Header=BB3_9 Depth=1
	s_or_b32 exec_lo, exec_lo, s4
	s_lshl_b32 s4, s16, 2
	s_mul_i32 s28, s16, s12
	s_add_co_i32 s4, s4, 0
	s_lshl_b32 s28, s28, 2
	s_wait_dscnt 0x0
	s_add_co_i32 s28, s4, s28
	s_barrier_signal -1
	s_barrier_wait -1
	s_and_saveexec_b32 s30, s1
	s_cbranch_execz .LBB3_22
; %bb.16:                               ;   in Loop: Header=BB3_9 Depth=1
	v_mov_b32_e32 v15, s23
	s_mov_b32 s4, 0
	s_mov_b32 s31, 0
	s_mov_b32 s33, exec_lo
	ds_load_2addr_b32 v[16:17], v15 offset0:2 offset1:3
	ds_load_2addr_b32 v[18:19], v15 offset0:4 offset1:5
	;; [unrolled: 1-line block ×3, first 2 shown]
	ds_load_b32 v15, v15 offset:32
	s_wait_dscnt 0x3
	v_add_f32_e32 v14, v14, v16
	s_delay_alu instid0(VALU_DEP_1) | instskip(SKIP_1) | instid1(VALU_DEP_1)
	v_add_f32_e32 v14, v14, v17
	s_wait_dscnt 0x2
	v_add_f32_e32 v14, v14, v18
	s_delay_alu instid0(VALU_DEP_1) | instskip(SKIP_1) | instid1(VALU_DEP_1)
	v_add_f32_e32 v14, v14, v19
	s_wait_dscnt 0x1
	v_add_f32_e32 v14, v14, v20
	s_delay_alu instid0(VALU_DEP_1) | instskip(SKIP_1) | instid1(VALU_DEP_1)
	v_add_f32_e32 v14, v14, v21
	s_wait_dscnt 0x0
	v_add_f32_e32 v16, v14, v15
                                        ; implicit-def: $vgpr14
	s_delay_alu instid0(VALU_DEP_1)
	v_cmpx_nlt_f32_e32 0, v16
	s_xor_b32 s33, exec_lo, s33
	s_cbranch_execnz .LBB3_37
; %bb.17:                               ;   in Loop: Header=BB3_9 Depth=1
	s_or_saveexec_b32 s33, s33
	v_mov_b32_e32 v15, 1.0
	s_xor_b32 exec_lo, exec_lo, s33
	s_cbranch_execnz .LBB3_41
.LBB3_18:                               ;   in Loop: Header=BB3_9 Depth=1
	s_or_b32 exec_lo, exec_lo, s33
	s_and_saveexec_b32 s33, s31
	s_cbranch_execnz .LBB3_42
.LBB3_19:                               ;   in Loop: Header=BB3_9 Depth=1
	s_or_b32 exec_lo, exec_lo, s33
	v_mov_b32_e32 v16, 0
	s_and_saveexec_b32 s31, s4
	s_cbranch_execz .LBB3_21
.LBB3_20:                               ;   in Loop: Header=BB3_9 Depth=1
	v_dual_mov_b32 v16, s28 :: v_dual_mov_b32 v17, s23
	s_wait_dscnt 0x0
	ds_store_b32 v16, v14
	ds_load_b32 v16, v17
.LBB3_21:                               ;   in Loop: Header=BB3_9 Depth=1
	s_or_b32 exec_lo, exec_lo, s31
	s_wait_dscnt 0x0
	v_mov_b32_e32 v14, s23
	s_lshl_b64 s[34:35], s[16:17], 2
	s_delay_alu instid0(SALU_CYCLE_1)
	s_add_nc_u64 s[34:35], s[8:9], s[34:35]
	global_store_b32 v13, v16, s[34:35]
	ds_store_b32 v14, v15 offset:4
.LBB3_22:                               ;   in Loop: Header=BB3_9 Depth=1
	s_wait_xcnt 0x0
	s_or_b32 exec_lo, exec_lo, s30
	s_wait_storecnt_dscnt 0x0
	s_barrier_signal -1
	s_barrier_wait -1
	s_and_saveexec_b32 s4, s3
	s_cbranch_execz .LBB3_25
; %bb.23:                               ;   in Loop: Header=BB3_9 Depth=1
	v_mov_b32_e32 v14, v0
	s_mov_b32 s3, 0
	s_mov_b32 s30, 0
.LBB3_24:                               ;   Parent Loop BB3_9 Depth=1
                                        ; =>  This Inner Loop Header: Depth=2
	s_delay_alu instid0(SALU_CYCLE_1)
	v_dual_mov_b32 v15, s23 :: v_dual_add_nc_u32 v16, s30, v9
	s_addk_co_i32 s30, 0x400
	ds_load_b32 v15, v15 offset:4
	ds_load_b32 v17, v16
	s_wait_dscnt 0x0
	v_dual_mul_f32 v15, v15, v17 :: v_dual_add_nc_u32 v14, 0x100, v14
	s_delay_alu instid0(VALU_DEP_1) | instskip(SKIP_2) | instid1(SALU_CYCLE_1)
	v_cmp_le_i32_e32 vcc_lo, s29, v14
	ds_store_b32 v16, v15
	s_or_b32 s3, vcc_lo, s3
	s_and_not1_b32 exec_lo, exec_lo, s3
	s_cbranch_execnz .LBB3_24
.LBB3_25:                               ;   in Loop: Header=BB3_9 Depth=1
	s_or_b32 exec_lo, exec_lo, s4
	s_not_b32 s3, s16
	s_mov_b32 s4, exec_lo
	s_add_co_i32 s3, s13, s3
	s_wait_dscnt 0x0
	s_barrier_signal -1
	s_barrier_wait -1
	v_cmpx_gt_i32_e64 s3, v0
	s_cbranch_execz .LBB3_31
; %bb.26:                               ;   in Loop: Header=BB3_9 Depth=1
	v_dual_mov_b32 v14, v10 :: v_dual_mov_b32 v15, v0
	s_cmp_gt_i32 s27, 0
	s_mov_b32 s29, 0
	s_cselect_b32 s30, -1, 0
	s_branch .LBB3_28
.LBB3_27:                               ;   in Loop: Header=BB3_28 Depth=2
	v_dual_mov_b32 v17, s23 :: v_dual_add_nc_u32 v14, s19, v14
	v_lshl_add_u32 v18, v15, 2, s22
	ds_load_b32 v17, v17
	s_wait_dscnt 0x0
	v_dual_mul_f32 v16, v16, v17 :: v_dual_add_nc_u32 v15, 0x100, v15
	s_delay_alu instid0(VALU_DEP_1) | instskip(SKIP_2) | instid1(SALU_CYCLE_1)
	v_cmp_le_i32_e32 vcc_lo, s3, v15
	ds_store_b32 v18, v16
	s_or_b32 s29, vcc_lo, s29
	s_and_not1_b32 exec_lo, exec_lo, s29
	s_cbranch_execz .LBB3_31
.LBB3_28:                               ;   Parent Loop BB3_9 Depth=1
                                        ; =>  This Loop Header: Depth=2
                                        ;       Child Loop BB3_30 Depth 3
	v_mov_b32_e32 v16, 0
	s_and_not1_b32 vcc_lo, exec_lo, s30
	s_cbranch_vccnz .LBB3_27
; %bb.29:                               ;   in Loop: Header=BB3_28 Depth=2
	v_mov_b32_e32 v17, v14
	s_mov_b32 s31, s24
	s_mov_b32 s33, s26
.LBB3_30:                               ;   Parent Loop BB3_9 Depth=1
                                        ;     Parent Loop BB3_28 Depth=2
                                        ; =>    This Inner Loop Header: Depth=3
	v_mov_b32_e32 v18, s31
	s_add_co_i32 s33, s33, -1
	s_add_co_i32 s31, s31, 4
	s_cmp_eq_u32 s33, 0
	ds_load_b32 v19, v17
	ds_load_b32 v18, v18
	s_wait_dscnt 0x0
	v_dual_fmac_f32 v16, v19, v18 :: v_dual_add_nc_u32 v17, 4, v17
	s_cbranch_scc0 .LBB3_30
	s_branch .LBB3_27
.LBB3_31:                               ;   in Loop: Header=BB3_9 Depth=1
	s_or_b32 exec_lo, exec_lo, s4
	s_delay_alu instid0(SALU_CYCLE_1)
	s_mov_b32 s4, exec_lo
	s_wait_dscnt 0x0
	s_barrier_signal -1
	s_barrier_wait -1
	v_cmpx_gt_i32_e64 s27, v0
	s_cbranch_execz .LBB3_8
; %bb.32:                               ;   in Loop: Header=BB3_9 Depth=1
	v_dual_mov_b32 v14, v11 :: v_dual_mov_b32 v15, v0
	s_cmp_gt_i32 s3, 0
	s_mov_b32 s3, 0
	s_cselect_b32 s29, -1, 0
	s_branch .LBB3_34
.LBB3_33:                               ;   in Loop: Header=BB3_34 Depth=2
	v_add_nc_u32_e32 v15, 0x100, v15
	v_add_nc_u32_e32 v14, 0x400, v14
	s_delay_alu instid0(VALU_DEP_2) | instskip(SKIP_1) | instid1(SALU_CYCLE_1)
	v_cmp_le_i32_e32 vcc_lo, s27, v15
	s_or_b32 s3, vcc_lo, s3
	s_and_not1_b32 exec_lo, exec_lo, s3
	s_cbranch_execz .LBB3_8
.LBB3_34:                               ;   Parent Loop BB3_9 Depth=1
                                        ; =>  This Loop Header: Depth=2
                                        ;       Child Loop BB3_36 Depth 3
	s_and_not1_b32 vcc_lo, exec_lo, s29
	s_cbranch_vccnz .LBB3_33
; %bb.35:                               ;   in Loop: Header=BB3_34 Depth=2
	v_lshl_add_u32 v16, v15, 2, s28
	v_mov_b32_e32 v17, v14
	s_mov_b32 s30, 1
	s_mov_b32 s31, s22
.LBB3_36:                               ;   Parent Loop BB3_9 Depth=1
                                        ;     Parent Loop BB3_34 Depth=2
                                        ; =>    This Inner Loop Header: Depth=3
	s_delay_alu instid0(SALU_CYCLE_1)
	v_mov_b32_e32 v18, s31
	s_add_co_i32 s30, s30, 1
	s_add_co_i32 s31, s31, 4
	ds_load_b32 v19, v17
	ds_load_b32 v20, v16
	;; [unrolled: 1-line block ×3, first 2 shown]
	s_cmp_eq_u32 s25, s30
	s_wait_dscnt 0x0
	v_fma_f32 v18, -v20, v18, v19
	ds_store_b32 v17, v18
	v_add_nc_u32_e32 v17, s11, v17
	s_cbranch_scc0 .LBB3_36
	s_branch .LBB3_33
.LBB3_37:                               ;   in Loop: Header=BB3_9 Depth=1
	v_mov_b32_e32 v14, s23
	s_and_b32 vcc_lo, exec_lo, s5
	ds_store_b32 v14, v13
	s_cbranch_vccz .LBB3_39
; %bb.38:                               ;   in Loop: Header=BB3_9 Depth=1
	v_mov_b32_e32 v14, s28
	s_mov_b32 s31, -1
	ds_load_b32 v14, v14
	s_branch .LBB3_40
.LBB3_39:                               ;   in Loop: Header=BB3_9 Depth=1
                                        ; implicit-def: $vgpr14
.LBB3_40:                               ;   in Loop: Header=BB3_9 Depth=1
	s_and_b32 s31, s31, exec_lo
                                        ; implicit-def: $vgpr16
	s_or_saveexec_b32 s33, s33
	v_mov_b32_e32 v15, 1.0
	s_xor_b32 exec_lo, exec_lo, s33
	s_cbranch_execz .LBB3_18
.LBB3_41:                               ;   in Loop: Header=BB3_9 Depth=1
	s_wait_dscnt 0x0
	v_mov_b32_e32 v14, s28
	s_and_not1_b32 s31, s31, exec_lo
	s_and_b32 s34, s5, exec_lo
	s_delay_alu instid0(SALU_CYCLE_1) | instskip(SKIP_3) | instid1(VALU_DEP_1)
	s_or_b32 s31, s31, s34
	ds_load_b32 v15, v14
	s_wait_dscnt 0x0
	v_fmac_f32_e32 v16, v15, v15
	v_mul_f32_e32 v14, 0x4f800000, v16
	v_cmp_gt_f32_e32 vcc_lo, 0xf800000, v16
	s_delay_alu instid0(VALU_DEP_2) | instskip(NEXT) | instid1(VALU_DEP_1)
	v_cndmask_b32_e32 v14, v16, v14, vcc_lo
	v_sqrt_f32_e32 v16, v14
	v_nop
	s_delay_alu instid0(TRANS32_DEP_1) | instskip(NEXT) | instid1(VALU_DEP_1)
	v_dual_add_nc_u32 v17, -1, v16 :: v_dual_add_nc_u32 v18, 1, v16
	v_dual_fma_f32 v19, -v17, v16, v14 :: v_dual_fma_f32 v20, -v18, v16, v14
	s_delay_alu instid0(VALU_DEP_1) | instskip(NEXT) | instid1(VALU_DEP_1)
	v_cmp_ge_f32_e64 s4, 0, v19
	v_cndmask_b32_e64 v16, v16, v17, s4
	s_delay_alu instid0(VALU_DEP_3) | instskip(NEXT) | instid1(VALU_DEP_1)
	v_cmp_lt_f32_e64 s4, 0, v20
	v_cndmask_b32_e64 v16, v16, v18, s4
	s_delay_alu instid0(VALU_DEP_1) | instskip(NEXT) | instid1(VALU_DEP_1)
	v_mul_f32_e32 v17, 0x37800000, v16
	v_cndmask_b32_e32 v16, v16, v17, vcc_lo
	v_cmp_class_f32_e64 vcc_lo, v14, 0x260
	s_delay_alu instid0(VALU_DEP_2) | instskip(SKIP_1) | instid1(VALU_DEP_2)
	v_cndmask_b32_e32 v14, v16, v14, vcc_lo
	v_cmp_le_f32_e32 vcc_lo, 0, v15
	v_cndmask_b32_e64 v14, v14, -v14, vcc_lo
	s_delay_alu instid0(VALU_DEP_1) | instskip(NEXT) | instid1(VALU_DEP_1)
	v_sub_f32_e32 v17, v14, v15
	v_div_scale_f32 v18, null, v14, v14, v17
	s_delay_alu instid0(VALU_DEP_1) | instskip(SKIP_1) | instid1(TRANS32_DEP_1)
	v_rcp_f32_e32 v20, v18
	v_nop
	v_fma_f32 v22, -v18, v20, 1.0
	s_delay_alu instid0(VALU_DEP_1) | instskip(NEXT) | instid1(VALU_DEP_1)
	v_dual_sub_f32 v16, v15, v14 :: v_dual_fmac_f32 v20, v22, v20
	v_div_scale_f32 v15, null, v16, v16, 1.0
	v_div_scale_f32 v23, vcc_lo, 1.0, v16, 1.0
	s_delay_alu instid0(VALU_DEP_2) | instskip(SKIP_1) | instid1(TRANS32_DEP_1)
	v_rcp_f32_e32 v19, v15
	v_nop
	v_fma_f32 v21, -v15, v19, 1.0
	s_delay_alu instid0(VALU_DEP_1) | instskip(SKIP_1) | instid1(VALU_DEP_1)
	v_fmac_f32_e32 v19, v21, v19
	v_div_scale_f32 v21, s4, v17, v14, v17
	v_dual_mul_f32 v22, v23, v19 :: v_dual_mul_f32 v24, v21, v20
	s_delay_alu instid0(VALU_DEP_1) | instskip(NEXT) | instid1(VALU_DEP_1)
	v_dual_fma_f32 v25, -v15, v22, v23 :: v_dual_fma_f32 v26, -v18, v24, v21
	v_dual_fmac_f32 v22, v25, v19 :: v_dual_fmac_f32 v24, v26, v20
	s_delay_alu instid0(VALU_DEP_1) | instskip(NEXT) | instid1(VALU_DEP_1)
	v_dual_fma_f32 v15, -v15, v22, v23 :: v_dual_fma_f32 v18, -v18, v24, v21
	v_div_fmas_f32 v15, v15, v19, v22
	s_mov_b32 vcc_lo, s4
	s_and_b32 s4, s10, exec_lo
	s_delay_alu instid0(VALU_DEP_2) | instskip(NEXT) | instid1(VALU_DEP_2)
	v_div_fmas_f32 v18, v18, v20, v24
	v_div_fixup_f32 v15, v15, v16, 1.0
	s_delay_alu instid0(VALU_DEP_2)
	v_div_fixup_f32 v16, v18, v14, v17
	v_mov_b32_e32 v17, s23
	ds_store_b32 v17, v16
	s_or_b32 exec_lo, exec_lo, s33
	s_and_saveexec_b32 s33, s31
	s_cbranch_execz .LBB3_19
.LBB3_42:                               ;   in Loop: Header=BB3_9 Depth=1
	s_lshl_b64 s[34:35], s[16:17], 2
	s_or_b32 s4, s4, exec_lo
	s_add_nc_u64 s[34:35], s[6:7], s[34:35]
	s_wait_dscnt 0x0
	global_store_b32 v13, v14, s[34:35]
	s_wait_xcnt 0x0
	v_mov_b32_e32 v14, 1.0
	s_or_b32 exec_lo, exec_lo, s33
	v_mov_b32_e32 v16, 0
	s_and_saveexec_b32 s31, s4
	s_cbranch_execnz .LBB3_20
	s_branch .LBB3_21
.LBB3_43:
	s_and_saveexec_b32 s0, s2
	s_cbranch_execz .LBB3_49
; %bb.44:
	v_mul_lo_u32 v4, s12, v2
	v_mad_u32 v0, s20, v2, v1
	s_lshl_b32 s1, s20, 1
	s_mov_b32 s2, 0
	s_lshl_b32 s3, s12, 3
	v_cmp_gt_i32_e32 vcc_lo, s13, v2
	s_delay_alu instid0(VALU_DEP_3) | instskip(NEXT) | instid1(VALU_DEP_1)
	v_lshlrev_b32_e32 v4, 2, v4
	v_add3_u32 v3, v4, v3, 0
	s_branch .LBB3_46
.LBB3_45:                               ;   in Loop: Header=BB3_46 Depth=1
	s_or_b32 exec_lo, exec_lo, s4
	v_add_nc_u32_e32 v1, 0x80, v1
	v_add_nc_u32_e32 v0, 0x80, v0
	v_add_nc_u32_e32 v3, 0x200, v3
	s_delay_alu instid0(VALU_DEP_3) | instskip(SKIP_1) | instid1(SALU_CYCLE_1)
	v_cmp_le_i32_e64 s0, s12, v1
	s_or_b32 s2, s0, s2
	s_and_not1_b32 exec_lo, exec_lo, s2
	s_cbranch_execz .LBB3_49
.LBB3_46:                               ; =>This Loop Header: Depth=1
                                        ;     Child Loop BB3_48 Depth 2
	s_and_saveexec_b32 s4, vcc_lo
	s_cbranch_execz .LBB3_45
; %bb.47:                               ;   in Loop: Header=BB3_46 Depth=1
	s_delay_alu instid0(VALU_DEP_1)
	v_dual_mov_b32 v4, v3 :: v_dual_mov_b32 v5, v0
	v_mov_b32_e32 v6, v2
	s_mov_b32 s5, 0
.LBB3_48:                               ;   Parent Loop BB3_46 Depth=1
                                        ; =>  This Inner Loop Header: Depth=2
	ds_load_b32 v7, v4
	v_dual_add_nc_u32 v6, 2, v6 :: v_dual_add_nc_u32 v4, s3, v4
	s_delay_alu instid0(VALU_DEP_1)
	v_cmp_le_i32_e64 s0, s13, v6
	s_or_b32 s5, s0, s5
	s_wait_dscnt 0x0
	flat_store_b32 v5, v7, s[14:15] scale_offset
	s_wait_xcnt 0x0
	v_add_nc_u32_e32 v5, s1, v5
	s_and_not1_b32 exec_lo, exec_lo, s5
	s_cbranch_execnz .LBB3_48
	s_branch .LBB3_45
.LBB3_49:
	s_endpgm
	.section	.rodata,"a",@progbits
	.p2align	6, 0x0
	.amdhsa_kernel _ZN9rocsolver6v33100L18geqr2_kernel_smallILi256EfifPKPfEEvT1_S5_T3_lS5_lPT2_lPT0_l
		.amdhsa_group_segment_fixed_size 0
		.amdhsa_private_segment_fixed_size 0
		.amdhsa_kernarg_size 72
		.amdhsa_user_sgpr_count 2
		.amdhsa_user_sgpr_dispatch_ptr 0
		.amdhsa_user_sgpr_queue_ptr 0
		.amdhsa_user_sgpr_kernarg_segment_ptr 1
		.amdhsa_user_sgpr_dispatch_id 0
		.amdhsa_user_sgpr_kernarg_preload_length 0
		.amdhsa_user_sgpr_kernarg_preload_offset 0
		.amdhsa_user_sgpr_private_segment_size 0
		.amdhsa_wavefront_size32 1
		.amdhsa_uses_dynamic_stack 0
		.amdhsa_enable_private_segment 0
		.amdhsa_system_sgpr_workgroup_id_x 1
		.amdhsa_system_sgpr_workgroup_id_y 0
		.amdhsa_system_sgpr_workgroup_id_z 1
		.amdhsa_system_sgpr_workgroup_info 0
		.amdhsa_system_vgpr_workitem_id 0
		.amdhsa_next_free_vgpr 27
		.amdhsa_next_free_sgpr 36
		.amdhsa_named_barrier_count 0
		.amdhsa_reserve_vcc 1
		.amdhsa_float_round_mode_32 0
		.amdhsa_float_round_mode_16_64 0
		.amdhsa_float_denorm_mode_32 3
		.amdhsa_float_denorm_mode_16_64 3
		.amdhsa_fp16_overflow 0
		.amdhsa_memory_ordered 1
		.amdhsa_forward_progress 1
		.amdhsa_inst_pref_size 20
		.amdhsa_round_robin_scheduling 0
		.amdhsa_exception_fp_ieee_invalid_op 0
		.amdhsa_exception_fp_denorm_src 0
		.amdhsa_exception_fp_ieee_div_zero 0
		.amdhsa_exception_fp_ieee_overflow 0
		.amdhsa_exception_fp_ieee_underflow 0
		.amdhsa_exception_fp_ieee_inexact 0
		.amdhsa_exception_int_div_zero 0
	.end_amdhsa_kernel
	.section	.text._ZN9rocsolver6v33100L18geqr2_kernel_smallILi256EfifPKPfEEvT1_S5_T3_lS5_lPT2_lPT0_l,"axG",@progbits,_ZN9rocsolver6v33100L18geqr2_kernel_smallILi256EfifPKPfEEvT1_S5_T3_lS5_lPT2_lPT0_l,comdat
.Lfunc_end3:
	.size	_ZN9rocsolver6v33100L18geqr2_kernel_smallILi256EfifPKPfEEvT1_S5_T3_lS5_lPT2_lPT0_l, .Lfunc_end3-_ZN9rocsolver6v33100L18geqr2_kernel_smallILi256EfifPKPfEEvT1_S5_T3_lS5_lPT2_lPT0_l
                                        ; -- End function
	.set _ZN9rocsolver6v33100L18geqr2_kernel_smallILi256EfifPKPfEEvT1_S5_T3_lS5_lPT2_lPT0_l.num_vgpr, 27
	.set _ZN9rocsolver6v33100L18geqr2_kernel_smallILi256EfifPKPfEEvT1_S5_T3_lS5_lPT2_lPT0_l.num_agpr, 0
	.set _ZN9rocsolver6v33100L18geqr2_kernel_smallILi256EfifPKPfEEvT1_S5_T3_lS5_lPT2_lPT0_l.numbered_sgpr, 36
	.set _ZN9rocsolver6v33100L18geqr2_kernel_smallILi256EfifPKPfEEvT1_S5_T3_lS5_lPT2_lPT0_l.num_named_barrier, 0
	.set _ZN9rocsolver6v33100L18geqr2_kernel_smallILi256EfifPKPfEEvT1_S5_T3_lS5_lPT2_lPT0_l.private_seg_size, 0
	.set _ZN9rocsolver6v33100L18geqr2_kernel_smallILi256EfifPKPfEEvT1_S5_T3_lS5_lPT2_lPT0_l.uses_vcc, 1
	.set _ZN9rocsolver6v33100L18geqr2_kernel_smallILi256EfifPKPfEEvT1_S5_T3_lS5_lPT2_lPT0_l.uses_flat_scratch, 0
	.set _ZN9rocsolver6v33100L18geqr2_kernel_smallILi256EfifPKPfEEvT1_S5_T3_lS5_lPT2_lPT0_l.has_dyn_sized_stack, 0
	.set _ZN9rocsolver6v33100L18geqr2_kernel_smallILi256EfifPKPfEEvT1_S5_T3_lS5_lPT2_lPT0_l.has_recursion, 0
	.set _ZN9rocsolver6v33100L18geqr2_kernel_smallILi256EfifPKPfEEvT1_S5_T3_lS5_lPT2_lPT0_l.has_indirect_call, 0
	.section	.AMDGPU.csdata,"",@progbits
; Kernel info:
; codeLenInByte = 2476
; TotalNumSgprs: 38
; NumVgprs: 27
; ScratchSize: 0
; MemoryBound: 0
; FloatMode: 240
; IeeeMode: 1
; LDSByteSize: 0 bytes/workgroup (compile time only)
; SGPRBlocks: 0
; VGPRBlocks: 1
; NumSGPRsForWavesPerEU: 38
; NumVGPRsForWavesPerEU: 27
; NamedBarCnt: 0
; Occupancy: 16
; WaveLimiterHint : 1
; COMPUTE_PGM_RSRC2:SCRATCH_EN: 0
; COMPUTE_PGM_RSRC2:USER_SGPR: 2
; COMPUTE_PGM_RSRC2:TRAP_HANDLER: 0
; COMPUTE_PGM_RSRC2:TGID_X_EN: 1
; COMPUTE_PGM_RSRC2:TGID_Y_EN: 0
; COMPUTE_PGM_RSRC2:TGID_Z_EN: 1
; COMPUTE_PGM_RSRC2:TIDIG_COMP_CNT: 0
	.section	.text._ZN9rocsolver6v33100L16reset_batch_infoIfiiPfEEvT2_lT0_T1_,"axG",@progbits,_ZN9rocsolver6v33100L16reset_batch_infoIfiiPfEEvT2_lT0_T1_,comdat
	.globl	_ZN9rocsolver6v33100L16reset_batch_infoIfiiPfEEvT2_lT0_T1_ ; -- Begin function _ZN9rocsolver6v33100L16reset_batch_infoIfiiPfEEvT2_lT0_T1_
	.p2align	8
	.type	_ZN9rocsolver6v33100L16reset_batch_infoIfiiPfEEvT2_lT0_T1_,@function
_ZN9rocsolver6v33100L16reset_batch_infoIfiiPfEEvT2_lT0_T1_: ; @_ZN9rocsolver6v33100L16reset_batch_infoIfiiPfEEvT2_lT0_T1_
; %bb.0:
	s_clause 0x1
	s_load_b32 s5, s[0:1], 0x24
	s_load_b64 s[2:3], s[0:1], 0x10
	s_bfe_u32 s4, ttmp6, 0x4000c
	s_and_b32 s6, ttmp6, 15
	s_add_co_i32 s7, s4, 1
	s_getreg_b32 s4, hwreg(HW_REG_IB_STS2, 6, 4)
	s_mul_i32 s7, ttmp9, s7
	s_delay_alu instid0(SALU_CYCLE_1) | instskip(SKIP_4) | instid1(SALU_CYCLE_1)
	s_add_co_i32 s6, s6, s7
	s_wait_kmcnt 0x0
	s_and_b32 s5, s5, 0xffff
	s_cmp_eq_u32 s4, 0
	s_cselect_b32 s6, ttmp9, s6
	v_mad_u32 v0, s6, s5, v0
	s_delay_alu instid0(VALU_DEP_1)
	v_cmp_gt_i32_e32 vcc_lo, s2, v0
	s_and_saveexec_b32 s2, vcc_lo
	s_cbranch_execz .LBB4_2
; %bb.1:
	s_load_b128 s[8:11], s[0:1], 0x0
	s_wait_xcnt 0x0
	s_bfe_u32 s0, ttmp6, 0x40010
	s_bfe_u32 s1, ttmp6, 0x40004
	s_add_co_i32 s0, s0, 1
	s_cvt_f32_i32 s2, s3
	s_mul_i32 s0, ttmp7, s0
	s_delay_alu instid0(SALU_CYCLE_1) | instskip(SKIP_3) | instid1(SALU_CYCLE_1)
	s_add_co_i32 s1, s1, s0
	s_cmp_eq_u32 s4, 0
	v_mov_b32_e32 v1, s2
	s_cselect_b32 s0, ttmp7, s1
	s_ashr_i32 s1, s0, 31
	s_wait_kmcnt 0x0
	s_mul_u64 s[0:1], s[10:11], s[0:1]
	s_delay_alu instid0(SALU_CYCLE_1) | instskip(NEXT) | instid1(SALU_CYCLE_1)
	s_lshl_b64 s[0:1], s[0:1], 2
	s_add_nc_u64 s[0:1], s[8:9], s[0:1]
	global_store_b32 v0, v1, s[0:1] scale_offset
.LBB4_2:
	s_endpgm
	.section	.rodata,"a",@progbits
	.p2align	6, 0x0
	.amdhsa_kernel _ZN9rocsolver6v33100L16reset_batch_infoIfiiPfEEvT2_lT0_T1_
		.amdhsa_group_segment_fixed_size 0
		.amdhsa_private_segment_fixed_size 0
		.amdhsa_kernarg_size 280
		.amdhsa_user_sgpr_count 2
		.amdhsa_user_sgpr_dispatch_ptr 0
		.amdhsa_user_sgpr_queue_ptr 0
		.amdhsa_user_sgpr_kernarg_segment_ptr 1
		.amdhsa_user_sgpr_dispatch_id 0
		.amdhsa_user_sgpr_kernarg_preload_length 0
		.amdhsa_user_sgpr_kernarg_preload_offset 0
		.amdhsa_user_sgpr_private_segment_size 0
		.amdhsa_wavefront_size32 1
		.amdhsa_uses_dynamic_stack 0
		.amdhsa_enable_private_segment 0
		.amdhsa_system_sgpr_workgroup_id_x 1
		.amdhsa_system_sgpr_workgroup_id_y 1
		.amdhsa_system_sgpr_workgroup_id_z 0
		.amdhsa_system_sgpr_workgroup_info 0
		.amdhsa_system_vgpr_workitem_id 0
		.amdhsa_next_free_vgpr 2
		.amdhsa_next_free_sgpr 12
		.amdhsa_named_barrier_count 0
		.amdhsa_reserve_vcc 1
		.amdhsa_float_round_mode_32 0
		.amdhsa_float_round_mode_16_64 0
		.amdhsa_float_denorm_mode_32 3
		.amdhsa_float_denorm_mode_16_64 3
		.amdhsa_fp16_overflow 0
		.amdhsa_memory_ordered 1
		.amdhsa_forward_progress 1
		.amdhsa_inst_pref_size 2
		.amdhsa_round_robin_scheduling 0
		.amdhsa_exception_fp_ieee_invalid_op 0
		.amdhsa_exception_fp_denorm_src 0
		.amdhsa_exception_fp_ieee_div_zero 0
		.amdhsa_exception_fp_ieee_overflow 0
		.amdhsa_exception_fp_ieee_underflow 0
		.amdhsa_exception_fp_ieee_inexact 0
		.amdhsa_exception_int_div_zero 0
	.end_amdhsa_kernel
	.section	.text._ZN9rocsolver6v33100L16reset_batch_infoIfiiPfEEvT2_lT0_T1_,"axG",@progbits,_ZN9rocsolver6v33100L16reset_batch_infoIfiiPfEEvT2_lT0_T1_,comdat
.Lfunc_end4:
	.size	_ZN9rocsolver6v33100L16reset_batch_infoIfiiPfEEvT2_lT0_T1_, .Lfunc_end4-_ZN9rocsolver6v33100L16reset_batch_infoIfiiPfEEvT2_lT0_T1_
                                        ; -- End function
	.set _ZN9rocsolver6v33100L16reset_batch_infoIfiiPfEEvT2_lT0_T1_.num_vgpr, 2
	.set _ZN9rocsolver6v33100L16reset_batch_infoIfiiPfEEvT2_lT0_T1_.num_agpr, 0
	.set _ZN9rocsolver6v33100L16reset_batch_infoIfiiPfEEvT2_lT0_T1_.numbered_sgpr, 12
	.set _ZN9rocsolver6v33100L16reset_batch_infoIfiiPfEEvT2_lT0_T1_.num_named_barrier, 0
	.set _ZN9rocsolver6v33100L16reset_batch_infoIfiiPfEEvT2_lT0_T1_.private_seg_size, 0
	.set _ZN9rocsolver6v33100L16reset_batch_infoIfiiPfEEvT2_lT0_T1_.uses_vcc, 1
	.set _ZN9rocsolver6v33100L16reset_batch_infoIfiiPfEEvT2_lT0_T1_.uses_flat_scratch, 0
	.set _ZN9rocsolver6v33100L16reset_batch_infoIfiiPfEEvT2_lT0_T1_.has_dyn_sized_stack, 0
	.set _ZN9rocsolver6v33100L16reset_batch_infoIfiiPfEEvT2_lT0_T1_.has_recursion, 0
	.set _ZN9rocsolver6v33100L16reset_batch_infoIfiiPfEEvT2_lT0_T1_.has_indirect_call, 0
	.section	.AMDGPU.csdata,"",@progbits
; Kernel info:
; codeLenInByte = 196
; TotalNumSgprs: 14
; NumVgprs: 2
; ScratchSize: 0
; MemoryBound: 0
; FloatMode: 240
; IeeeMode: 1
; LDSByteSize: 0 bytes/workgroup (compile time only)
; SGPRBlocks: 0
; VGPRBlocks: 0
; NumSGPRsForWavesPerEU: 14
; NumVGPRsForWavesPerEU: 2
; NamedBarCnt: 0
; Occupancy: 16
; WaveLimiterHint : 0
; COMPUTE_PGM_RSRC2:SCRATCH_EN: 0
; COMPUTE_PGM_RSRC2:USER_SGPR: 2
; COMPUTE_PGM_RSRC2:TRAP_HANDLER: 0
; COMPUTE_PGM_RSRC2:TGID_X_EN: 1
; COMPUTE_PGM_RSRC2:TGID_Y_EN: 1
; COMPUTE_PGM_RSRC2:TGID_Z_EN: 0
; COMPUTE_PGM_RSRC2:TIDIG_COMP_CNT: 0
	.section	.text._ZN9rocsolver6v33100L8set_diagIfifPKPfTnNSt9enable_ifIXoont18rocblas_is_complexIT_E18rocblas_is_complexIT1_EEiE4typeELi0EEEvPS7_llT2_lT0_lSC_b,"axG",@progbits,_ZN9rocsolver6v33100L8set_diagIfifPKPfTnNSt9enable_ifIXoont18rocblas_is_complexIT_E18rocblas_is_complexIT1_EEiE4typeELi0EEEvPS7_llT2_lT0_lSC_b,comdat
	.globl	_ZN9rocsolver6v33100L8set_diagIfifPKPfTnNSt9enable_ifIXoont18rocblas_is_complexIT_E18rocblas_is_complexIT1_EEiE4typeELi0EEEvPS7_llT2_lT0_lSC_b ; -- Begin function _ZN9rocsolver6v33100L8set_diagIfifPKPfTnNSt9enable_ifIXoont18rocblas_is_complexIT_E18rocblas_is_complexIT1_EEiE4typeELi0EEEvPS7_llT2_lT0_lSC_b
	.p2align	8
	.type	_ZN9rocsolver6v33100L8set_diagIfifPKPfTnNSt9enable_ifIXoont18rocblas_is_complexIT_E18rocblas_is_complexIT1_EEiE4typeELi0EEEvPS7_llT2_lT0_lSC_b,@function
_ZN9rocsolver6v33100L8set_diagIfifPKPfTnNSt9enable_ifIXoont18rocblas_is_complexIT_E18rocblas_is_complexIT1_EEiE4typeELi0EEEvPS7_llT2_lT0_lSC_b: ; @_ZN9rocsolver6v33100L8set_diagIfifPKPfTnNSt9enable_ifIXoont18rocblas_is_complexIT_E18rocblas_is_complexIT1_EEiE4typeELi0EEEvPS7_llT2_lT0_lSC_b
; %bb.0:
	s_load_u16 s5, s[0:1], 0x4e
	s_bfe_u32 s2, ttmp6, 0x40010
	s_bfe_u32 s6, ttmp6, 0x40004
	s_add_co_i32 s4, s2, 1
	s_load_b64 s[2:3], s[0:1], 0x38
	s_mul_i32 s4, ttmp7, s4
	v_bfe_u32 v0, v0, 10, 10
	s_add_co_i32 s6, s6, s4
	s_getreg_b32 s4, hwreg(HW_REG_IB_STS2, 6, 4)
	s_delay_alu instid0(SALU_CYCLE_1) | instskip(SKIP_3) | instid1(VALU_DEP_1)
	s_cmp_eq_u32 s4, 0
	s_cselect_b32 s6, ttmp7, s6
	s_wait_kmcnt 0x0
	v_mad_u32 v0, s6, s5, v0
	v_cmp_gt_i32_e32 vcc_lo, s2, v0
	s_and_saveexec_b32 s2, vcc_lo
	s_cbranch_execz .LBB5_2
; %bb.1:
	s_load_b256 s[8:15], s[0:1], 0x0
	s_bitcmp1_b32 s3, 0
	s_cselect_b32 s16, -1, 0
	s_bfe_u32 s2, ttmp6, 0x4000c
	s_and_b32 s3, ttmp6, 15
	s_add_co_i32 s2, s2, 1
	s_delay_alu instid0(SALU_CYCLE_1) | instskip(NEXT) | instid1(SALU_CYCLE_1)
	s_mul_i32 s2, ttmp9, s2
	s_add_co_i32 s3, s3, s2
	s_cmp_eq_u32 s4, 0
	s_wait_xcnt 0x0
	s_load_b96 s[0:2], s[0:1], 0x20
	s_cselect_b32 s4, ttmp9, s3
	s_delay_alu instid0(SALU_CYCLE_1) | instskip(NEXT) | instid1(SALU_CYCLE_1)
	s_ashr_i32 s5, s4, 31
	s_lshl_b64 s[6:7], s[4:5], 3
	s_wait_kmcnt 0x0
	s_add_nc_u64 s[6:7], s[14:15], s[6:7]
	s_load_b64 s[6:7], s[6:7], 0x0
	v_mad_u32 v1, v0, s2, v0
	s_lshl_b64 s[0:1], s[0:1], 2
	s_mul_u64 s[2:3], s[12:13], s[4:5]
	s_lshl_b64 s[4:5], s[10:11], 2
	s_lshl_b64 s[2:3], s[2:3], 2
	s_delay_alu instid0(SALU_CYCLE_1) | instskip(NEXT) | instid1(SALU_CYCLE_1)
	s_add_nc_u64 s[2:3], s[8:9], s[2:3]
	s_add_nc_u64 s[2:3], s[2:3], s[4:5]
	s_wait_kmcnt 0x0
	s_add_nc_u64 s[0:1], s[6:7], s[0:1]
	flat_load_b32 v2, v1, s[0:1] scale_offset
	s_wait_loadcnt_dscnt 0x0
	v_cndmask_b32_e64 v3, v2, 1.0, s16
	global_store_b32 v0, v2, s[2:3] scale_offset
	flat_store_b32 v1, v3, s[0:1] scale_offset
.LBB5_2:
	s_endpgm
	.section	.rodata,"a",@progbits
	.p2align	6, 0x0
	.amdhsa_kernel _ZN9rocsolver6v33100L8set_diagIfifPKPfTnNSt9enable_ifIXoont18rocblas_is_complexIT_E18rocblas_is_complexIT1_EEiE4typeELi0EEEvPS7_llT2_lT0_lSC_b
		.amdhsa_group_segment_fixed_size 0
		.amdhsa_private_segment_fixed_size 0
		.amdhsa_kernarg_size 320
		.amdhsa_user_sgpr_count 2
		.amdhsa_user_sgpr_dispatch_ptr 0
		.amdhsa_user_sgpr_queue_ptr 0
		.amdhsa_user_sgpr_kernarg_segment_ptr 1
		.amdhsa_user_sgpr_dispatch_id 0
		.amdhsa_user_sgpr_kernarg_preload_length 0
		.amdhsa_user_sgpr_kernarg_preload_offset 0
		.amdhsa_user_sgpr_private_segment_size 0
		.amdhsa_wavefront_size32 1
		.amdhsa_uses_dynamic_stack 0
		.amdhsa_enable_private_segment 0
		.amdhsa_system_sgpr_workgroup_id_x 1
		.amdhsa_system_sgpr_workgroup_id_y 1
		.amdhsa_system_sgpr_workgroup_id_z 0
		.amdhsa_system_sgpr_workgroup_info 0
		.amdhsa_system_vgpr_workitem_id 1
		.amdhsa_next_free_vgpr 4
		.amdhsa_next_free_sgpr 17
		.amdhsa_named_barrier_count 0
		.amdhsa_reserve_vcc 1
		.amdhsa_float_round_mode_32 0
		.amdhsa_float_round_mode_16_64 0
		.amdhsa_float_denorm_mode_32 3
		.amdhsa_float_denorm_mode_16_64 3
		.amdhsa_fp16_overflow 0
		.amdhsa_memory_ordered 1
		.amdhsa_forward_progress 1
		.amdhsa_inst_pref_size 3
		.amdhsa_round_robin_scheduling 0
		.amdhsa_exception_fp_ieee_invalid_op 0
		.amdhsa_exception_fp_denorm_src 0
		.amdhsa_exception_fp_ieee_div_zero 0
		.amdhsa_exception_fp_ieee_overflow 0
		.amdhsa_exception_fp_ieee_underflow 0
		.amdhsa_exception_fp_ieee_inexact 0
		.amdhsa_exception_int_div_zero 0
	.end_amdhsa_kernel
	.section	.text._ZN9rocsolver6v33100L8set_diagIfifPKPfTnNSt9enable_ifIXoont18rocblas_is_complexIT_E18rocblas_is_complexIT1_EEiE4typeELi0EEEvPS7_llT2_lT0_lSC_b,"axG",@progbits,_ZN9rocsolver6v33100L8set_diagIfifPKPfTnNSt9enable_ifIXoont18rocblas_is_complexIT_E18rocblas_is_complexIT1_EEiE4typeELi0EEEvPS7_llT2_lT0_lSC_b,comdat
.Lfunc_end5:
	.size	_ZN9rocsolver6v33100L8set_diagIfifPKPfTnNSt9enable_ifIXoont18rocblas_is_complexIT_E18rocblas_is_complexIT1_EEiE4typeELi0EEEvPS7_llT2_lT0_lSC_b, .Lfunc_end5-_ZN9rocsolver6v33100L8set_diagIfifPKPfTnNSt9enable_ifIXoont18rocblas_is_complexIT_E18rocblas_is_complexIT1_EEiE4typeELi0EEEvPS7_llT2_lT0_lSC_b
                                        ; -- End function
	.set _ZN9rocsolver6v33100L8set_diagIfifPKPfTnNSt9enable_ifIXoont18rocblas_is_complexIT_E18rocblas_is_complexIT1_EEiE4typeELi0EEEvPS7_llT2_lT0_lSC_b.num_vgpr, 4
	.set _ZN9rocsolver6v33100L8set_diagIfifPKPfTnNSt9enable_ifIXoont18rocblas_is_complexIT_E18rocblas_is_complexIT1_EEiE4typeELi0EEEvPS7_llT2_lT0_lSC_b.num_agpr, 0
	.set _ZN9rocsolver6v33100L8set_diagIfifPKPfTnNSt9enable_ifIXoont18rocblas_is_complexIT_E18rocblas_is_complexIT1_EEiE4typeELi0EEEvPS7_llT2_lT0_lSC_b.numbered_sgpr, 17
	.set _ZN9rocsolver6v33100L8set_diagIfifPKPfTnNSt9enable_ifIXoont18rocblas_is_complexIT_E18rocblas_is_complexIT1_EEiE4typeELi0EEEvPS7_llT2_lT0_lSC_b.num_named_barrier, 0
	.set _ZN9rocsolver6v33100L8set_diagIfifPKPfTnNSt9enable_ifIXoont18rocblas_is_complexIT_E18rocblas_is_complexIT1_EEiE4typeELi0EEEvPS7_llT2_lT0_lSC_b.private_seg_size, 0
	.set _ZN9rocsolver6v33100L8set_diagIfifPKPfTnNSt9enable_ifIXoont18rocblas_is_complexIT_E18rocblas_is_complexIT1_EEiE4typeELi0EEEvPS7_llT2_lT0_lSC_b.uses_vcc, 1
	.set _ZN9rocsolver6v33100L8set_diagIfifPKPfTnNSt9enable_ifIXoont18rocblas_is_complexIT_E18rocblas_is_complexIT1_EEiE4typeELi0EEEvPS7_llT2_lT0_lSC_b.uses_flat_scratch, 0
	.set _ZN9rocsolver6v33100L8set_diagIfifPKPfTnNSt9enable_ifIXoont18rocblas_is_complexIT_E18rocblas_is_complexIT1_EEiE4typeELi0EEEvPS7_llT2_lT0_lSC_b.has_dyn_sized_stack, 0
	.set _ZN9rocsolver6v33100L8set_diagIfifPKPfTnNSt9enable_ifIXoont18rocblas_is_complexIT_E18rocblas_is_complexIT1_EEiE4typeELi0EEEvPS7_llT2_lT0_lSC_b.has_recursion, 0
	.set _ZN9rocsolver6v33100L8set_diagIfifPKPfTnNSt9enable_ifIXoont18rocblas_is_complexIT_E18rocblas_is_complexIT1_EEiE4typeELi0EEEvPS7_llT2_lT0_lSC_b.has_indirect_call, 0
	.section	.AMDGPU.csdata,"",@progbits
; Kernel info:
; codeLenInByte = 280
; TotalNumSgprs: 19
; NumVgprs: 4
; ScratchSize: 0
; MemoryBound: 0
; FloatMode: 240
; IeeeMode: 1
; LDSByteSize: 0 bytes/workgroup (compile time only)
; SGPRBlocks: 0
; VGPRBlocks: 0
; NumSGPRsForWavesPerEU: 19
; NumVGPRsForWavesPerEU: 4
; NamedBarCnt: 0
; Occupancy: 16
; WaveLimiterHint : 1
; COMPUTE_PGM_RSRC2:SCRATCH_EN: 0
; COMPUTE_PGM_RSRC2:USER_SGPR: 2
; COMPUTE_PGM_RSRC2:TRAP_HANDLER: 0
; COMPUTE_PGM_RSRC2:TGID_X_EN: 1
; COMPUTE_PGM_RSRC2:TGID_Y_EN: 1
; COMPUTE_PGM_RSRC2:TGID_Z_EN: 0
; COMPUTE_PGM_RSRC2:TIDIG_COMP_CNT: 1
	.section	.text._ZN9rocsolver6v33100L11set_taubetaIfifPKPfEEvPT_lS6_T2_llPT1_ll,"axG",@progbits,_ZN9rocsolver6v33100L11set_taubetaIfifPKPfEEvPT_lS6_T2_llPT1_ll,comdat
	.globl	_ZN9rocsolver6v33100L11set_taubetaIfifPKPfEEvPT_lS6_T2_llPT1_ll ; -- Begin function _ZN9rocsolver6v33100L11set_taubetaIfifPKPfEEvPT_lS6_T2_llPT1_ll
	.p2align	8
	.type	_ZN9rocsolver6v33100L11set_taubetaIfifPKPfEEvPT_lS6_T2_llPT1_ll,@function
_ZN9rocsolver6v33100L11set_taubetaIfifPKPfEEvPT_lS6_T2_llPT1_ll: ; @_ZN9rocsolver6v33100L11set_taubetaIfifPKPfEEvPT_lS6_T2_llPT1_ll
; %bb.0:
	s_load_b256 s[4:11], s[0:1], 0x0
	s_bfe_u32 s2, ttmp6, 0x4000c
	s_and_b32 s3, ttmp6, 15
	s_add_co_i32 s2, s2, 1
	s_getreg_b32 s12, hwreg(HW_REG_IB_STS2, 6, 4)
	s_mul_i32 s2, ttmp9, s2
	s_mov_b32 s20, 0
	s_add_co_i32 s3, s3, s2
	s_cmp_eq_u32 s12, 0
	s_load_b128 s[12:15], s[0:1], 0x30
	s_cselect_b32 s16, ttmp9, s3
	s_delay_alu instid0(SALU_CYCLE_1) | instskip(NEXT) | instid1(SALU_CYCLE_1)
	s_ashr_i32 s17, s16, 31
	s_lshl_b64 s[2:3], s[16:17], 3
	s_wait_kmcnt 0x0
	s_add_nc_u64 s[2:3], s[10:11], s[2:3]
	s_load_b64 s[18:19], s[0:1], 0x20
	s_load_b64 s[10:11], s[2:3], 0x0
	s_wait_xcnt 0x0
	s_mov_b64 s[2:3], 0
	s_cmp_eq_u64 s[12:13], 0
	s_cbranch_scc1 .LBB6_2
; %bb.1:
	s_load_b64 s[0:1], s[0:1], 0x40
	s_lshl_b64 s[2:3], s[14:15], 2
	s_wait_kmcnt 0x0
	s_mul_u64 s[0:1], s[0:1], s[16:17]
	s_delay_alu instid0(SALU_CYCLE_1) | instskip(NEXT) | instid1(SALU_CYCLE_1)
	s_lshl_b64 s[0:1], s[0:1], 2
	s_add_nc_u64 s[0:1], s[12:13], s[0:1]
	s_delay_alu instid0(SALU_CYCLE_1)
	s_add_nc_u64 s[2:3], s[0:1], s[2:3]
.LBB6_2:
	s_lshl_b64 s[0:1], s[16:17], 2
	s_delay_alu instid0(SALU_CYCLE_1)
	s_add_nc_u64 s[8:9], s[8:9], s[0:1]
	s_mul_u64 s[0:1], s[6:7], s[16:17]
	s_load_b32 s13, s[8:9], 0x0
	s_wait_kmcnt 0x0
	s_lshl_b64 s[6:7], s[18:19], 2
	s_lshl_b64 s[14:15], s[0:1], 2
	s_cmp_eq_u64 s[2:3], 0
	s_add_nc_u64 s[6:7], s[10:11], s[6:7]
	s_cselect_b32 s1, -1, 0
	s_cmp_lg_u64 s[2:3], 0
	s_add_nc_u64 s[4:5], s[4:5], s[14:15]
	s_cselect_b32 s12, -1, 0
	s_mov_b32 s0, 0
	s_cmp_ngt_f32 s13, 0
	s_cbranch_scc0 .LBB6_8
; %bb.3:
	v_dual_mov_b32 v2, 1.0 :: v_dual_mov_b32 v1, 0
	s_mov_b32 s10, 0
	s_and_b32 vcc_lo, exec_lo, s12
                                        ; implicit-def: $vgpr0
	s_clause 0x1
	global_store_b32 v1, v2, s[8:9]
	global_store_b32 v1, v1, s[4:5]
	s_cbranch_vccnz .LBB6_9
; %bb.4:
	s_and_b32 vcc_lo, exec_lo, s10
	s_cbranch_vccnz .LBB6_10
.LBB6_5:
	s_and_not1_b32 vcc_lo, exec_lo, s20
	s_cbranch_vccz .LBB6_11
.LBB6_6:
	s_and_not1_b32 vcc_lo, exec_lo, s0
	s_cbranch_vccz .LBB6_12
; %bb.7:
	s_endpgm
.LBB6_8:
                                        ; implicit-def: $vgpr0
	s_cbranch_execz .LBB6_5
	s_branch .LBB6_10
.LBB6_9:
	flat_load_b32 v0, v1, s[6:7]
	s_mov_b32 s20, -1
	s_and_b32 vcc_lo, exec_lo, s10
	s_cbranch_vccz .LBB6_5
.LBB6_10:
	s_wait_xcnt 0x0
	v_mov_b32_e32 v1, 0
	s_mov_b32 s20, s12
	flat_load_b32 v2, v1, s[6:7]
	s_wait_loadcnt_dscnt 0x0
	v_fma_f32 v0, v2, v2, s13
	s_delay_alu instid0(VALU_DEP_1) | instskip(SKIP_1) | instid1(VALU_DEP_2)
	v_mul_f32_e32 v3, 0x4f800000, v0
	v_cmp_gt_f32_e32 vcc_lo, 0xf800000, v0
	v_cndmask_b32_e32 v0, v0, v3, vcc_lo
	s_delay_alu instid0(VALU_DEP_1) | instskip(SKIP_1) | instid1(TRANS32_DEP_1)
	v_sqrt_f32_e32 v3, v0
	v_nop
	v_dual_add_nc_u32 v4, -1, v3 :: v_dual_add_nc_u32 v5, 1, v3
	s_delay_alu instid0(VALU_DEP_1) | instskip(NEXT) | instid1(VALU_DEP_1)
	v_dual_fma_f32 v6, -v4, v3, v0 :: v_dual_fma_f32 v7, -v5, v3, v0
	v_cmp_ge_f32_e64 s0, 0, v6
	s_delay_alu instid0(VALU_DEP_1) | instskip(NEXT) | instid1(VALU_DEP_3)
	v_cndmask_b32_e64 v3, v3, v4, s0
	v_cmp_lt_f32_e64 s0, 0, v7
	s_delay_alu instid0(VALU_DEP_1) | instskip(SKIP_1) | instid1(VALU_DEP_1)
	v_cndmask_b32_e64 v3, v3, v5, s0
	s_mov_b32 s0, s1
	v_mul_f32_e32 v4, 0x37800000, v3
	s_delay_alu instid0(VALU_DEP_1) | instskip(SKIP_1) | instid1(VALU_DEP_2)
	v_cndmask_b32_e32 v3, v3, v4, vcc_lo
	v_cmp_class_f32_e64 vcc_lo, v0, 0x260
	v_cndmask_b32_e32 v0, v3, v0, vcc_lo
	v_cmp_le_f32_e32 vcc_lo, 0, v2
	s_delay_alu instid0(VALU_DEP_2) | instskip(NEXT) | instid1(VALU_DEP_1)
	v_cndmask_b32_e64 v0, v0, -v0, vcc_lo
	v_sub_f32_e32 v2, v2, v0
	s_delay_alu instid0(VALU_DEP_1) | instskip(SKIP_1) | instid1(VALU_DEP_2)
	v_div_scale_f32 v3, null, v2, v2, 1.0
	v_div_scale_f32 v6, vcc_lo, 1.0, v2, 1.0
	v_rcp_f32_e32 v4, v3
	v_nop
	s_delay_alu instid0(TRANS32_DEP_1) | instskip(NEXT) | instid1(VALU_DEP_1)
	v_fma_f32 v5, -v3, v4, 1.0
	v_fmac_f32_e32 v4, v5, v4
	s_delay_alu instid0(VALU_DEP_1) | instskip(NEXT) | instid1(VALU_DEP_1)
	v_mul_f32_e32 v5, v6, v4
	v_fma_f32 v7, -v3, v5, v6
	s_delay_alu instid0(VALU_DEP_1) | instskip(NEXT) | instid1(VALU_DEP_1)
	v_fmac_f32_e32 v5, v7, v4
	v_fma_f32 v3, -v3, v5, v6
	s_delay_alu instid0(VALU_DEP_1) | instskip(NEXT) | instid1(VALU_DEP_1)
	v_div_fmas_f32 v3, v3, v4, v5
	v_div_fixup_f32 v2, v3, v2, 1.0
	global_store_b32 v1, v2, s[8:9]
	flat_load_b32 v2, v1, s[6:7]
	s_wait_loadcnt_dscnt 0x0
	v_sub_f32_e32 v2, v0, v2
	s_delay_alu instid0(VALU_DEP_1) | instskip(NEXT) | instid1(VALU_DEP_1)
	v_div_scale_f32 v3, null, v0, v0, v2
	v_rcp_f32_e32 v4, v3
	v_nop
	s_delay_alu instid0(TRANS32_DEP_1) | instskip(NEXT) | instid1(VALU_DEP_1)
	v_fma_f32 v5, -v3, v4, 1.0
	v_fmac_f32_e32 v4, v5, v4
	v_div_scale_f32 v5, vcc_lo, v2, v0, v2
	s_delay_alu instid0(VALU_DEP_1) | instskip(NEXT) | instid1(VALU_DEP_1)
	v_mul_f32_e32 v6, v5, v4
	v_fma_f32 v7, -v3, v6, v5
	s_delay_alu instid0(VALU_DEP_1) | instskip(NEXT) | instid1(VALU_DEP_1)
	v_fmac_f32_e32 v6, v7, v4
	v_fma_f32 v3, -v3, v6, v5
	s_delay_alu instid0(VALU_DEP_1) | instskip(NEXT) | instid1(VALU_DEP_1)
	v_div_fmas_f32 v3, v3, v4, v6
	v_div_fixup_f32 v2, v3, v0, v2
	global_store_b32 v1, v2, s[4:5]
	s_and_not1_b32 vcc_lo, exec_lo, s20
	s_cbranch_vccnz .LBB6_6
.LBB6_11:
	s_wait_xcnt 0x0
	v_mov_b32_e32 v1, 0
	s_wait_loadcnt_dscnt 0x0
	global_store_b32 v1, v0, s[2:3]
	s_wait_xcnt 0x0
	v_mov_b32_e32 v0, 1.0
.LBB6_12:
	s_wait_xcnt 0x0
	v_mov_b32_e32 v1, 0
	s_wait_loadcnt_dscnt 0x0
	flat_store_b32 v1, v0, s[6:7]
	s_endpgm
	.section	.rodata,"a",@progbits
	.p2align	6, 0x0
	.amdhsa_kernel _ZN9rocsolver6v33100L11set_taubetaIfifPKPfEEvPT_lS6_T2_llPT1_ll
		.amdhsa_group_segment_fixed_size 0
		.amdhsa_private_segment_fixed_size 0
		.amdhsa_kernarg_size 72
		.amdhsa_user_sgpr_count 2
		.amdhsa_user_sgpr_dispatch_ptr 0
		.amdhsa_user_sgpr_queue_ptr 0
		.amdhsa_user_sgpr_kernarg_segment_ptr 1
		.amdhsa_user_sgpr_dispatch_id 0
		.amdhsa_user_sgpr_kernarg_preload_length 0
		.amdhsa_user_sgpr_kernarg_preload_offset 0
		.amdhsa_user_sgpr_private_segment_size 0
		.amdhsa_wavefront_size32 1
		.amdhsa_uses_dynamic_stack 0
		.amdhsa_enable_private_segment 0
		.amdhsa_system_sgpr_workgroup_id_x 1
		.amdhsa_system_sgpr_workgroup_id_y 0
		.amdhsa_system_sgpr_workgroup_id_z 0
		.amdhsa_system_sgpr_workgroup_info 0
		.amdhsa_system_vgpr_workitem_id 0
		.amdhsa_next_free_vgpr 8
		.amdhsa_next_free_sgpr 21
		.amdhsa_named_barrier_count 0
		.amdhsa_reserve_vcc 1
		.amdhsa_float_round_mode_32 0
		.amdhsa_float_round_mode_16_64 0
		.amdhsa_float_denorm_mode_32 3
		.amdhsa_float_denorm_mode_16_64 3
		.amdhsa_fp16_overflow 0
		.amdhsa_memory_ordered 1
		.amdhsa_forward_progress 1
		.amdhsa_inst_pref_size 7
		.amdhsa_round_robin_scheduling 0
		.amdhsa_exception_fp_ieee_invalid_op 0
		.amdhsa_exception_fp_denorm_src 0
		.amdhsa_exception_fp_ieee_div_zero 0
		.amdhsa_exception_fp_ieee_overflow 0
		.amdhsa_exception_fp_ieee_underflow 0
		.amdhsa_exception_fp_ieee_inexact 0
		.amdhsa_exception_int_div_zero 0
	.end_amdhsa_kernel
	.section	.text._ZN9rocsolver6v33100L11set_taubetaIfifPKPfEEvPT_lS6_T2_llPT1_ll,"axG",@progbits,_ZN9rocsolver6v33100L11set_taubetaIfifPKPfEEvPT_lS6_T2_llPT1_ll,comdat
.Lfunc_end6:
	.size	_ZN9rocsolver6v33100L11set_taubetaIfifPKPfEEvPT_lS6_T2_llPT1_ll, .Lfunc_end6-_ZN9rocsolver6v33100L11set_taubetaIfifPKPfEEvPT_lS6_T2_llPT1_ll
                                        ; -- End function
	.set _ZN9rocsolver6v33100L11set_taubetaIfifPKPfEEvPT_lS6_T2_llPT1_ll.num_vgpr, 8
	.set _ZN9rocsolver6v33100L11set_taubetaIfifPKPfEEvPT_lS6_T2_llPT1_ll.num_agpr, 0
	.set _ZN9rocsolver6v33100L11set_taubetaIfifPKPfEEvPT_lS6_T2_llPT1_ll.numbered_sgpr, 21
	.set _ZN9rocsolver6v33100L11set_taubetaIfifPKPfEEvPT_lS6_T2_llPT1_ll.num_named_barrier, 0
	.set _ZN9rocsolver6v33100L11set_taubetaIfifPKPfEEvPT_lS6_T2_llPT1_ll.private_seg_size, 0
	.set _ZN9rocsolver6v33100L11set_taubetaIfifPKPfEEvPT_lS6_T2_llPT1_ll.uses_vcc, 1
	.set _ZN9rocsolver6v33100L11set_taubetaIfifPKPfEEvPT_lS6_T2_llPT1_ll.uses_flat_scratch, 0
	.set _ZN9rocsolver6v33100L11set_taubetaIfifPKPfEEvPT_lS6_T2_llPT1_ll.has_dyn_sized_stack, 0
	.set _ZN9rocsolver6v33100L11set_taubetaIfifPKPfEEvPT_lS6_T2_llPT1_ll.has_recursion, 0
	.set _ZN9rocsolver6v33100L11set_taubetaIfifPKPfEEvPT_lS6_T2_llPT1_ll.has_indirect_call, 0
	.section	.AMDGPU.csdata,"",@progbits
; Kernel info:
; codeLenInByte = 828
; TotalNumSgprs: 23
; NumVgprs: 8
; ScratchSize: 0
; MemoryBound: 0
; FloatMode: 240
; IeeeMode: 1
; LDSByteSize: 0 bytes/workgroup (compile time only)
; SGPRBlocks: 0
; VGPRBlocks: 0
; NumSGPRsForWavesPerEU: 23
; NumVGPRsForWavesPerEU: 8
; NamedBarCnt: 0
; Occupancy: 16
; WaveLimiterHint : 1
; COMPUTE_PGM_RSRC2:SCRATCH_EN: 0
; COMPUTE_PGM_RSRC2:USER_SGPR: 2
; COMPUTE_PGM_RSRC2:TRAP_HANDLER: 0
; COMPUTE_PGM_RSRC2:TGID_X_EN: 1
; COMPUTE_PGM_RSRC2:TGID_Y_EN: 0
; COMPUTE_PGM_RSRC2:TGID_Z_EN: 0
; COMPUTE_PGM_RSRC2:TIDIG_COMP_CNT: 0
	.section	.text._ZN9rocsolver6v33100L13conj_in_placeIfiPfTnNSt9enable_ifIXnt18rocblas_is_complexIT_EEiE4typeELi0EEEvT0_S7_T1_lS7_l,"axG",@progbits,_ZN9rocsolver6v33100L13conj_in_placeIfiPfTnNSt9enable_ifIXnt18rocblas_is_complexIT_EEiE4typeELi0EEEvT0_S7_T1_lS7_l,comdat
	.globl	_ZN9rocsolver6v33100L13conj_in_placeIfiPfTnNSt9enable_ifIXnt18rocblas_is_complexIT_EEiE4typeELi0EEEvT0_S7_T1_lS7_l ; -- Begin function _ZN9rocsolver6v33100L13conj_in_placeIfiPfTnNSt9enable_ifIXnt18rocblas_is_complexIT_EEiE4typeELi0EEEvT0_S7_T1_lS7_l
	.p2align	8
	.type	_ZN9rocsolver6v33100L13conj_in_placeIfiPfTnNSt9enable_ifIXnt18rocblas_is_complexIT_EEiE4typeELi0EEEvT0_S7_T1_lS7_l,@function
_ZN9rocsolver6v33100L13conj_in_placeIfiPfTnNSt9enable_ifIXnt18rocblas_is_complexIT_EEiE4typeELi0EEEvT0_S7_T1_lS7_l: ; @_ZN9rocsolver6v33100L13conj_in_placeIfiPfTnNSt9enable_ifIXnt18rocblas_is_complexIT_EEiE4typeELi0EEEvT0_S7_T1_lS7_l
; %bb.0:
	s_endpgm
	.section	.rodata,"a",@progbits
	.p2align	6, 0x0
	.amdhsa_kernel _ZN9rocsolver6v33100L13conj_in_placeIfiPfTnNSt9enable_ifIXnt18rocblas_is_complexIT_EEiE4typeELi0EEEvT0_S7_T1_lS7_l
		.amdhsa_group_segment_fixed_size 0
		.amdhsa_private_segment_fixed_size 0
		.amdhsa_kernarg_size 40
		.amdhsa_user_sgpr_count 2
		.amdhsa_user_sgpr_dispatch_ptr 0
		.amdhsa_user_sgpr_queue_ptr 0
		.amdhsa_user_sgpr_kernarg_segment_ptr 1
		.amdhsa_user_sgpr_dispatch_id 0
		.amdhsa_user_sgpr_kernarg_preload_length 0
		.amdhsa_user_sgpr_kernarg_preload_offset 0
		.amdhsa_user_sgpr_private_segment_size 0
		.amdhsa_wavefront_size32 1
		.amdhsa_uses_dynamic_stack 0
		.amdhsa_enable_private_segment 0
		.amdhsa_system_sgpr_workgroup_id_x 1
		.amdhsa_system_sgpr_workgroup_id_y 0
		.amdhsa_system_sgpr_workgroup_id_z 0
		.amdhsa_system_sgpr_workgroup_info 0
		.amdhsa_system_vgpr_workitem_id 0
		.amdhsa_next_free_vgpr 1
		.amdhsa_next_free_sgpr 1
		.amdhsa_named_barrier_count 0
		.amdhsa_reserve_vcc 0
		.amdhsa_float_round_mode_32 0
		.amdhsa_float_round_mode_16_64 0
		.amdhsa_float_denorm_mode_32 3
		.amdhsa_float_denorm_mode_16_64 3
		.amdhsa_fp16_overflow 0
		.amdhsa_memory_ordered 1
		.amdhsa_forward_progress 1
		.amdhsa_inst_pref_size 1
		.amdhsa_round_robin_scheduling 0
		.amdhsa_exception_fp_ieee_invalid_op 0
		.amdhsa_exception_fp_denorm_src 0
		.amdhsa_exception_fp_ieee_div_zero 0
		.amdhsa_exception_fp_ieee_overflow 0
		.amdhsa_exception_fp_ieee_underflow 0
		.amdhsa_exception_fp_ieee_inexact 0
		.amdhsa_exception_int_div_zero 0
	.end_amdhsa_kernel
	.section	.text._ZN9rocsolver6v33100L13conj_in_placeIfiPfTnNSt9enable_ifIXnt18rocblas_is_complexIT_EEiE4typeELi0EEEvT0_S7_T1_lS7_l,"axG",@progbits,_ZN9rocsolver6v33100L13conj_in_placeIfiPfTnNSt9enable_ifIXnt18rocblas_is_complexIT_EEiE4typeELi0EEEvT0_S7_T1_lS7_l,comdat
.Lfunc_end7:
	.size	_ZN9rocsolver6v33100L13conj_in_placeIfiPfTnNSt9enable_ifIXnt18rocblas_is_complexIT_EEiE4typeELi0EEEvT0_S7_T1_lS7_l, .Lfunc_end7-_ZN9rocsolver6v33100L13conj_in_placeIfiPfTnNSt9enable_ifIXnt18rocblas_is_complexIT_EEiE4typeELi0EEEvT0_S7_T1_lS7_l
                                        ; -- End function
	.set _ZN9rocsolver6v33100L13conj_in_placeIfiPfTnNSt9enable_ifIXnt18rocblas_is_complexIT_EEiE4typeELi0EEEvT0_S7_T1_lS7_l.num_vgpr, 0
	.set _ZN9rocsolver6v33100L13conj_in_placeIfiPfTnNSt9enable_ifIXnt18rocblas_is_complexIT_EEiE4typeELi0EEEvT0_S7_T1_lS7_l.num_agpr, 0
	.set _ZN9rocsolver6v33100L13conj_in_placeIfiPfTnNSt9enable_ifIXnt18rocblas_is_complexIT_EEiE4typeELi0EEEvT0_S7_T1_lS7_l.numbered_sgpr, 0
	.set _ZN9rocsolver6v33100L13conj_in_placeIfiPfTnNSt9enable_ifIXnt18rocblas_is_complexIT_EEiE4typeELi0EEEvT0_S7_T1_lS7_l.num_named_barrier, 0
	.set _ZN9rocsolver6v33100L13conj_in_placeIfiPfTnNSt9enable_ifIXnt18rocblas_is_complexIT_EEiE4typeELi0EEEvT0_S7_T1_lS7_l.private_seg_size, 0
	.set _ZN9rocsolver6v33100L13conj_in_placeIfiPfTnNSt9enable_ifIXnt18rocblas_is_complexIT_EEiE4typeELi0EEEvT0_S7_T1_lS7_l.uses_vcc, 0
	.set _ZN9rocsolver6v33100L13conj_in_placeIfiPfTnNSt9enable_ifIXnt18rocblas_is_complexIT_EEiE4typeELi0EEEvT0_S7_T1_lS7_l.uses_flat_scratch, 0
	.set _ZN9rocsolver6v33100L13conj_in_placeIfiPfTnNSt9enable_ifIXnt18rocblas_is_complexIT_EEiE4typeELi0EEEvT0_S7_T1_lS7_l.has_dyn_sized_stack, 0
	.set _ZN9rocsolver6v33100L13conj_in_placeIfiPfTnNSt9enable_ifIXnt18rocblas_is_complexIT_EEiE4typeELi0EEEvT0_S7_T1_lS7_l.has_recursion, 0
	.set _ZN9rocsolver6v33100L13conj_in_placeIfiPfTnNSt9enable_ifIXnt18rocblas_is_complexIT_EEiE4typeELi0EEEvT0_S7_T1_lS7_l.has_indirect_call, 0
	.section	.AMDGPU.csdata,"",@progbits
; Kernel info:
; codeLenInByte = 4
; TotalNumSgprs: 0
; NumVgprs: 0
; ScratchSize: 0
; MemoryBound: 0
; FloatMode: 240
; IeeeMode: 1
; LDSByteSize: 0 bytes/workgroup (compile time only)
; SGPRBlocks: 0
; VGPRBlocks: 0
; NumSGPRsForWavesPerEU: 1
; NumVGPRsForWavesPerEU: 1
; NamedBarCnt: 0
; Occupancy: 16
; WaveLimiterHint : 0
; COMPUTE_PGM_RSRC2:SCRATCH_EN: 0
; COMPUTE_PGM_RSRC2:USER_SGPR: 2
; COMPUTE_PGM_RSRC2:TRAP_HANDLER: 0
; COMPUTE_PGM_RSRC2:TGID_X_EN: 1
; COMPUTE_PGM_RSRC2:TGID_Y_EN: 0
; COMPUTE_PGM_RSRC2:TGID_Z_EN: 0
; COMPUTE_PGM_RSRC2:TIDIG_COMP_CNT: 0
	.section	.text._ZN9rocsolver6v33100L16larf_left_kernelILi1024EfiPKPfEEvT1_S5_T2_lS5_lPKT0_lS6_lS5_l,"axG",@progbits,_ZN9rocsolver6v33100L16larf_left_kernelILi1024EfiPKPfEEvT1_S5_T2_lS5_lPKT0_lS6_lS5_l,comdat
	.globl	_ZN9rocsolver6v33100L16larf_left_kernelILi1024EfiPKPfEEvT1_S5_T2_lS5_lPKT0_lS6_lS5_l ; -- Begin function _ZN9rocsolver6v33100L16larf_left_kernelILi1024EfiPKPfEEvT1_S5_T2_lS5_lPKT0_lS6_lS5_l
	.p2align	8
	.type	_ZN9rocsolver6v33100L16larf_left_kernelILi1024EfiPKPfEEvT1_S5_T2_lS5_lPKT0_lS6_lS5_l,@function
_ZN9rocsolver6v33100L16larf_left_kernelILi1024EfiPKPfEEvT1_S5_T2_lS5_lPKT0_lS6_lS5_l: ; @_ZN9rocsolver6v33100L16larf_left_kernelILi1024EfiPKPfEEvT1_S5_T2_lS5_lPKT0_lS6_lS5_l
; %bb.0:
	s_clause 0x1
	s_load_b32 s14, s[0:1], 0x48
	s_load_b256 s[4:11], s[0:1], 0x28
	s_bfe_u32 s2, ttmp6, 0x40010
	s_bfe_u32 s13, ttmp6, 0x40014
	s_and_b32 s17, ttmp7, 0xffff
	s_lshr_b32 s12, ttmp7, 16
	s_add_co_i32 s2, s2, 1
	s_add_co_i32 s13, s13, 1
	s_bfe_u32 s3, ttmp6, 0x40004
	s_bfe_u32 s18, ttmp6, 0x40008
	s_mul_i32 s2, s17, s2
	s_mul_i32 s13, s12, s13
	s_getreg_b32 s19, hwreg(HW_REG_IB_STS2, 6, 4)
	s_load_b32 s16, s[0:1], 0x0
	s_add_co_i32 s20, s3, s2
	s_add_co_i32 s18, s18, s13
	s_mov_b32 s13, 0
	v_dual_mov_b32 v5, 0 :: v_dual_lshlrev_b32 v2, 2, v0
	s_wait_kmcnt 0x0
	s_ashr_i32 s15, s14, 31
	s_cmp_eq_u32 s19, 0
	s_cselect_b32 s12, s12, s18
	s_load_b64 s[2:3], s[8:9], s12 offset:0x0 scale_offset
	s_wait_xcnt 0x0
	s_cselect_b32 s8, s17, s20
	s_mov_b32 s9, s13
	s_delay_alu instid0(SALU_CYCLE_1)
	s_mul_u64 s[8:9], s[8:9], s[14:15]
	v_cmp_gt_i32_e32 vcc_lo, s16, v0
	s_and_saveexec_b32 s17, vcc_lo
	s_cbranch_execz .LBB8_6
; %bb.1:
	s_clause 0x1
	s_load_b32 s14, s[0:1], 0x18
	s_load_b128 s[20:23], s[0:1], 0x8
	v_dual_mov_b32 v1, 0 :: v_dual_mov_b32 v6, v0
	s_sub_co_i32 s19, 1, s16
	s_wait_kmcnt 0x0
	s_ashr_i32 s15, s14, 31
	s_load_b64 s[0:1], s[20:21], s12 offset:0x0 scale_offset
	v_mul_u64_e32 v[4:5], s[14:15], v[0:1]
	v_cmp_lt_i64_e64 s18, s[14:15], 1
	s_mul_i32 s19, s14, s19
	v_add3_u32 v1, v2, 0, 0x80
	s_delay_alu instid0(VALU_DEP_1)
	v_mov_b32_e32 v3, v1
	s_and_b32 s18, s18, exec_lo
	s_cselect_b32 s18, s19, 0
	s_wait_xcnt 0x0
	s_lshl_b64 s[20:21], s[22:23], 2
	s_ashr_i32 s19, s18, 31
	s_lshl_b64 s[14:15], s[14:15], 12
	s_lshl_b64 s[18:19], s[18:19], 2
	s_wait_kmcnt 0x0
	s_add_nc_u64 s[0:1], s[0:1], s[18:19]
	s_delay_alu instid0(SALU_CYCLE_1) | instskip(NEXT) | instid1(SALU_CYCLE_1)
	s_add_nc_u64 s[0:1], s[0:1], s[20:21]
	v_lshl_add_u64 v[4:5], v[4:5], 2, s[0:1]
	s_mov_b32 s1, s13
.LBB8_2:                                ; =>This Inner Loop Header: Depth=1
	flat_load_b32 v7, v[4:5]
	v_add_nc_u32_e32 v6, 0x400, v6
	s_wait_xcnt 0x0
	v_add_nc_u64_e32 v[4:5], s[14:15], v[4:5]
	s_delay_alu instid0(VALU_DEP_2)
	v_cmp_le_i32_e64 s0, s16, v6
	s_or_b32 s1, s0, s1
	s_wait_loadcnt_dscnt 0x0
	ds_store_b32 v3, v7
	v_add_nc_u32_e32 v3, 0x1000, v3
	s_and_not1_b32 exec_lo, exec_lo, s1
	s_cbranch_execnz .LBB8_2
; %bb.3:
	s_or_b32 exec_lo, exec_lo, s1
	s_lshl_b64 s[0:1], s[8:9], 2
	s_lshl_b64 s[14:15], s[10:11], 2
	v_dual_mov_b32 v5, 0 :: v_dual_lshlrev_b32 v4, 2, v0
	s_add_nc_u64 s[0:1], s[0:1], s[14:15]
	v_mov_b32_e32 v3, v0
	s_add_nc_u64 s[0:1], s[2:3], s[0:1]
	s_delay_alu instid0(VALU_DEP_2) | instid1(SALU_CYCLE_1)
	v_add_nc_u64_e32 v[6:7], s[0:1], v[4:5]
	s_mov_b32 s1, 0
.LBB8_4:                                ; =>This Inner Loop Header: Depth=1
	flat_load_b32 v4, v[6:7]
	ds_load_b32 v8, v1
	v_add_nc_u32_e32 v3, 0x400, v3
	s_wait_xcnt 0x0
	v_add_nc_u64_e32 v[6:7], 0x1000, v[6:7]
	v_add_nc_u32_e32 v1, 0x1000, v1
	s_delay_alu instid0(VALU_DEP_3)
	v_cmp_le_i32_e64 s0, s16, v3
	s_or_b32 s1, s0, s1
	s_wait_loadcnt_dscnt 0x0
	v_fmac_f32_e32 v5, v4, v8
	s_and_not1_b32 exec_lo, exec_lo, s1
	s_cbranch_execnz .LBB8_4
; %bb.5:
	s_or_b32 exec_lo, exec_lo, s1
.LBB8_6:
	s_delay_alu instid0(SALU_CYCLE_1) | instskip(SKIP_2) | instid1(VALU_DEP_1)
	s_or_b32 exec_lo, exec_lo, s17
	v_mbcnt_lo_u32_b32 v1, -1, 0
	s_mov_b32 s1, exec_lo
	v_cmp_ne_u32_e64 s0, 31, v1
	s_delay_alu instid0(VALU_DEP_1) | instskip(SKIP_1) | instid1(VALU_DEP_2)
	v_add_co_ci_u32_e64 v3, null, 0, v1, s0
	v_cmp_gt_u32_e64 s0, 30, v1
	v_lshlrev_b32_e32 v3, 2, v3
	s_delay_alu instid0(VALU_DEP_2)
	v_cndmask_b32_e64 v4, 0, 2, s0
	v_cmp_gt_u32_e64 s0, 28, v1
	ds_bpermute_b32 v3, v3, v5
	v_add_lshl_u32 v4, v4, v1, 2
	s_wait_dscnt 0x0
	v_add_f32_e32 v3, v5, v3
	v_cndmask_b32_e64 v5, 0, 4, s0
	v_cmp_gt_u32_e64 s0, 24, v1
	ds_bpermute_b32 v4, v4, v3
	v_add_lshl_u32 v5, v5, v1, 2
	s_wait_dscnt 0x0
	v_add_f32_e32 v3, v3, v4
	ds_bpermute_b32 v4, v5, v3
	v_cndmask_b32_e64 v5, 0, 8, s0
	s_delay_alu instid0(VALU_DEP_1)
	v_add_lshl_u32 v5, v5, v1, 2
	v_lshl_or_b32 v1, v1, 2, 64
	s_wait_dscnt 0x0
	v_add_f32_e32 v3, v3, v4
	ds_bpermute_b32 v4, v5, v3
	s_wait_dscnt 0x0
	v_add_f32_e32 v3, v3, v4
	v_and_b32_e32 v4, 31, v0
	ds_bpermute_b32 v1, v1, v3
	s_wait_dscnt 0x0
	v_add_f32_e32 v1, v3, v1
	v_cmpx_eq_u32_e32 0, v4
; %bb.7:
	v_lshrrev_b32_e32 v3, 3, v0
	s_delay_alu instid0(VALU_DEP_1)
	v_add_nc_u32_e32 v3, 0, v3
	ds_store_b32 v3, v1
; %bb.8:
	s_or_b32 exec_lo, exec_lo, s1
	s_delay_alu instid0(SALU_CYCLE_1)
	s_mov_b32 s1, exec_lo
	s_wait_dscnt 0x0
	s_barrier_signal -1
	s_barrier_wait -1
	v_cmpx_eq_u32_e32 0, v0
	s_cbranch_execz .LBB8_10
; %bb.9:
	v_mov_b32_e32 v3, 0
	ds_load_2addr_b32 v[4:5], v3 offset0:1 offset1:2
	ds_load_2addr_b32 v[6:7], v3 offset0:3 offset1:4
	;; [unrolled: 1-line block ×4, first 2 shown]
	s_wait_dscnt 0x3
	v_add_f32_e32 v1, v1, v4
	s_delay_alu instid0(VALU_DEP_1) | instskip(SKIP_3) | instid1(VALU_DEP_1)
	v_add_f32_e32 v1, v1, v5
	ds_load_2addr_b32 v[4:5], v3 offset0:9 offset1:10
	s_wait_dscnt 0x3
	v_add_f32_e32 v1, v1, v6
	v_add_f32_e32 v1, v1, v7
	ds_load_2addr_b32 v[6:7], v3 offset0:11 offset1:12
	s_wait_dscnt 0x3
	v_add_f32_e32 v1, v1, v8
	s_delay_alu instid0(VALU_DEP_1) | instskip(SKIP_1) | instid1(VALU_DEP_1)
	v_add_f32_e32 v1, v1, v9
	s_wait_dscnt 0x2
	v_add_f32_e32 v1, v1, v10
	s_delay_alu instid0(VALU_DEP_1) | instskip(SKIP_4) | instid1(VALU_DEP_1)
	v_add_f32_e32 v1, v1, v11
	ds_load_2addr_b32 v[8:9], v3 offset0:13 offset1:14
	ds_load_2addr_b32 v[10:11], v3 offset0:15 offset1:16
	s_wait_dscnt 0x3
	v_add_f32_e32 v1, v1, v4
	v_add_f32_e32 v1, v1, v5
	ds_load_2addr_b32 v[4:5], v3 offset0:17 offset1:18
	s_wait_dscnt 0x3
	v_add_f32_e32 v1, v1, v6
	s_delay_alu instid0(VALU_DEP_1) | instskip(SKIP_3) | instid1(VALU_DEP_1)
	v_add_f32_e32 v1, v1, v7
	ds_load_2addr_b32 v[6:7], v3 offset0:19 offset1:20
	s_wait_dscnt 0x3
	v_add_f32_e32 v1, v1, v8
	v_add_f32_e32 v1, v1, v9
	s_wait_dscnt 0x2
	s_delay_alu instid0(VALU_DEP_1) | instskip(NEXT) | instid1(VALU_DEP_1)
	v_add_f32_e32 v1, v1, v10
	v_add_f32_e32 v1, v1, v11
	ds_load_2addr_b32 v[8:9], v3 offset0:21 offset1:22
	ds_load_2addr_b32 v[10:11], v3 offset0:23 offset1:24
	s_wait_dscnt 0x3
	v_add_f32_e32 v1, v1, v4
	s_delay_alu instid0(VALU_DEP_1) | instskip(SKIP_3) | instid1(VALU_DEP_1)
	v_add_f32_e32 v1, v1, v5
	ds_load_2addr_b32 v[4:5], v3 offset0:25 offset1:26
	s_wait_dscnt 0x3
	v_add_f32_e32 v1, v1, v6
	v_add_f32_e32 v1, v1, v7
	ds_load_2addr_b32 v[6:7], v3 offset0:27 offset1:28
	s_wait_dscnt 0x3
	v_add_f32_e32 v1, v1, v8
	s_delay_alu instid0(VALU_DEP_1) | instskip(SKIP_1) | instid1(VALU_DEP_1)
	v_add_f32_e32 v1, v1, v9
	s_wait_dscnt 0x2
	v_add_f32_e32 v1, v1, v10
	ds_load_2addr_b32 v[8:9], v3 offset0:29 offset1:30
	ds_load_b32 v10, v3 offset:124
	v_add_f32_e32 v1, v1, v11
	s_wait_dscnt 0x3
	s_delay_alu instid0(VALU_DEP_1) | instskip(NEXT) | instid1(VALU_DEP_1)
	v_add_f32_e32 v1, v1, v4
	v_add_f32_e32 v1, v1, v5
	s_wait_dscnt 0x2
	s_delay_alu instid0(VALU_DEP_1) | instskip(NEXT) | instid1(VALU_DEP_1)
	v_add_f32_e32 v1, v1, v6
	;; [unrolled: 4-line block ×3, first 2 shown]
	v_add_f32_e32 v1, v1, v9
	s_wait_dscnt 0x0
	s_delay_alu instid0(VALU_DEP_1)
	v_add_f32_e32 v1, v1, v10
	ds_store_b32 v3, v1
.LBB8_10:
	s_or_b32 exec_lo, exec_lo, s1
	s_wait_dscnt 0x0
	s_barrier_signal -1
	s_barrier_wait -1
	s_and_saveexec_b32 s0, vcc_lo
	s_cbranch_execz .LBB8_13
; %bb.11:
	s_mul_u64 s[0:1], s[6:7], s[12:13]
	s_delay_alu instid0(SALU_CYCLE_1) | instskip(NEXT) | instid1(SALU_CYCLE_1)
	s_lshl_b64 s[0:1], s[0:1], 2
	s_add_nc_u64 s[0:1], s[4:5], s[0:1]
	s_lshl_b64 s[4:5], s[10:11], 2
	s_load_b32 s6, s[0:1], 0x0
	s_wait_xcnt 0x0
	s_lshl_b64 s[0:1], s[8:9], 2
	s_delay_alu instid0(SALU_CYCLE_1)
	s_add_nc_u64 s[0:1], s[0:1], s[4:5]
	s_wait_kmcnt 0x0
	s_add_nc_u64 s[0:1], s[2:3], s[0:1]
	s_xor_b32 s2, s6, 0x80000000
	v_mov_b32_e32 v3, 0
	ds_load_b32 v1, v3
	s_wait_dscnt 0x0
	v_mul_f32_e32 v1, s2, v1
	v_add_nc_u64_e32 v[4:5], s[0:1], v[2:3]
	v_add3_u32 v2, v2, 0, 0x80
	s_mov_b32 s0, 0
.LBB8_12:                               ; =>This Inner Loop Header: Depth=1
	flat_load_b32 v3, v[4:5]
	ds_load_b32 v6, v2
	v_add_nc_u32_e32 v0, 0x400, v0
	v_add_nc_u32_e32 v2, 0x1000, v2
	s_wait_loadcnt_dscnt 0x0
	v_fmac_f32_e32 v3, v1, v6
	s_delay_alu instid0(VALU_DEP_3) | instskip(SKIP_4) | instid1(SALU_CYCLE_1)
	v_cmp_le_i32_e32 vcc_lo, s16, v0
	flat_store_b32 v[4:5], v3
	s_wait_xcnt 0x0
	v_add_nc_u64_e32 v[4:5], 0x1000, v[4:5]
	s_or_b32 s0, vcc_lo, s0
	s_and_not1_b32 exec_lo, exec_lo, s0
	s_cbranch_execnz .LBB8_12
.LBB8_13:
	s_endpgm
	.section	.rodata,"a",@progbits
	.p2align	6, 0x0
	.amdhsa_kernel _ZN9rocsolver6v33100L16larf_left_kernelILi1024EfiPKPfEEvT1_S5_T2_lS5_lPKT0_lS6_lS5_l
		.amdhsa_group_segment_fixed_size 0
		.amdhsa_private_segment_fixed_size 0
		.amdhsa_kernarg_size 88
		.amdhsa_user_sgpr_count 2
		.amdhsa_user_sgpr_dispatch_ptr 0
		.amdhsa_user_sgpr_queue_ptr 0
		.amdhsa_user_sgpr_kernarg_segment_ptr 1
		.amdhsa_user_sgpr_dispatch_id 0
		.amdhsa_user_sgpr_kernarg_preload_length 0
		.amdhsa_user_sgpr_kernarg_preload_offset 0
		.amdhsa_user_sgpr_private_segment_size 0
		.amdhsa_wavefront_size32 1
		.amdhsa_uses_dynamic_stack 0
		.amdhsa_enable_private_segment 0
		.amdhsa_system_sgpr_workgroup_id_x 1
		.amdhsa_system_sgpr_workgroup_id_y 1
		.amdhsa_system_sgpr_workgroup_id_z 1
		.amdhsa_system_sgpr_workgroup_info 0
		.amdhsa_system_vgpr_workitem_id 0
		.amdhsa_next_free_vgpr 12
		.amdhsa_next_free_sgpr 24
		.amdhsa_named_barrier_count 0
		.amdhsa_reserve_vcc 1
		.amdhsa_float_round_mode_32 0
		.amdhsa_float_round_mode_16_64 0
		.amdhsa_float_denorm_mode_32 3
		.amdhsa_float_denorm_mode_16_64 3
		.amdhsa_fp16_overflow 0
		.amdhsa_memory_ordered 1
		.amdhsa_forward_progress 1
		.amdhsa_inst_pref_size 11
		.amdhsa_round_robin_scheduling 0
		.amdhsa_exception_fp_ieee_invalid_op 0
		.amdhsa_exception_fp_denorm_src 0
		.amdhsa_exception_fp_ieee_div_zero 0
		.amdhsa_exception_fp_ieee_overflow 0
		.amdhsa_exception_fp_ieee_underflow 0
		.amdhsa_exception_fp_ieee_inexact 0
		.amdhsa_exception_int_div_zero 0
	.end_amdhsa_kernel
	.section	.text._ZN9rocsolver6v33100L16larf_left_kernelILi1024EfiPKPfEEvT1_S5_T2_lS5_lPKT0_lS6_lS5_l,"axG",@progbits,_ZN9rocsolver6v33100L16larf_left_kernelILi1024EfiPKPfEEvT1_S5_T2_lS5_lPKT0_lS6_lS5_l,comdat
.Lfunc_end8:
	.size	_ZN9rocsolver6v33100L16larf_left_kernelILi1024EfiPKPfEEvT1_S5_T2_lS5_lPKT0_lS6_lS5_l, .Lfunc_end8-_ZN9rocsolver6v33100L16larf_left_kernelILi1024EfiPKPfEEvT1_S5_T2_lS5_lPKT0_lS6_lS5_l
                                        ; -- End function
	.set _ZN9rocsolver6v33100L16larf_left_kernelILi1024EfiPKPfEEvT1_S5_T2_lS5_lPKT0_lS6_lS5_l.num_vgpr, 12
	.set _ZN9rocsolver6v33100L16larf_left_kernelILi1024EfiPKPfEEvT1_S5_T2_lS5_lPKT0_lS6_lS5_l.num_agpr, 0
	.set _ZN9rocsolver6v33100L16larf_left_kernelILi1024EfiPKPfEEvT1_S5_T2_lS5_lPKT0_lS6_lS5_l.numbered_sgpr, 24
	.set _ZN9rocsolver6v33100L16larf_left_kernelILi1024EfiPKPfEEvT1_S5_T2_lS5_lPKT0_lS6_lS5_l.num_named_barrier, 0
	.set _ZN9rocsolver6v33100L16larf_left_kernelILi1024EfiPKPfEEvT1_S5_T2_lS5_lPKT0_lS6_lS5_l.private_seg_size, 0
	.set _ZN9rocsolver6v33100L16larf_left_kernelILi1024EfiPKPfEEvT1_S5_T2_lS5_lPKT0_lS6_lS5_l.uses_vcc, 1
	.set _ZN9rocsolver6v33100L16larf_left_kernelILi1024EfiPKPfEEvT1_S5_T2_lS5_lPKT0_lS6_lS5_l.uses_flat_scratch, 0
	.set _ZN9rocsolver6v33100L16larf_left_kernelILi1024EfiPKPfEEvT1_S5_T2_lS5_lPKT0_lS6_lS5_l.has_dyn_sized_stack, 0
	.set _ZN9rocsolver6v33100L16larf_left_kernelILi1024EfiPKPfEEvT1_S5_T2_lS5_lPKT0_lS6_lS5_l.has_recursion, 0
	.set _ZN9rocsolver6v33100L16larf_left_kernelILi1024EfiPKPfEEvT1_S5_T2_lS5_lPKT0_lS6_lS5_l.has_indirect_call, 0
	.section	.AMDGPU.csdata,"",@progbits
; Kernel info:
; codeLenInByte = 1368
; TotalNumSgprs: 26
; NumVgprs: 12
; ScratchSize: 0
; MemoryBound: 0
; FloatMode: 240
; IeeeMode: 1
; LDSByteSize: 0 bytes/workgroup (compile time only)
; SGPRBlocks: 0
; VGPRBlocks: 0
; NumSGPRsForWavesPerEU: 26
; NumVGPRsForWavesPerEU: 12
; NamedBarCnt: 0
; Occupancy: 16
; WaveLimiterHint : 0
; COMPUTE_PGM_RSRC2:SCRATCH_EN: 0
; COMPUTE_PGM_RSRC2:USER_SGPR: 2
; COMPUTE_PGM_RSRC2:TRAP_HANDLER: 0
; COMPUTE_PGM_RSRC2:TGID_X_EN: 1
; COMPUTE_PGM_RSRC2:TGID_Y_EN: 1
; COMPUTE_PGM_RSRC2:TGID_Z_EN: 1
; COMPUTE_PGM_RSRC2:TIDIG_COMP_CNT: 0
	.section	.text._ZN9rocsolver6v33100L17larf_right_kernelILi1024EfiPKPfEEvT1_S5_T2_lS5_lPKT0_lS6_lS5_l,"axG",@progbits,_ZN9rocsolver6v33100L17larf_right_kernelILi1024EfiPKPfEEvT1_S5_T2_lS5_lPKT0_lS6_lS5_l,comdat
	.globl	_ZN9rocsolver6v33100L17larf_right_kernelILi1024EfiPKPfEEvT1_S5_T2_lS5_lPKT0_lS6_lS5_l ; -- Begin function _ZN9rocsolver6v33100L17larf_right_kernelILi1024EfiPKPfEEvT1_S5_T2_lS5_lPKT0_lS6_lS5_l
	.p2align	8
	.type	_ZN9rocsolver6v33100L17larf_right_kernelILi1024EfiPKPfEEvT1_S5_T2_lS5_lPKT0_lS6_lS5_l,@function
_ZN9rocsolver6v33100L17larf_right_kernelILi1024EfiPKPfEEvT1_S5_T2_lS5_lPKT0_lS6_lS5_l: ; @_ZN9rocsolver6v33100L17larf_right_kernelILi1024EfiPKPfEEvT1_S5_T2_lS5_lPKT0_lS6_lS5_l
; %bb.0:
	s_load_b256 s[4:11], s[0:1], 0x28
	s_bfe_u32 s2, ttmp6, 0x40010
	s_and_b32 s3, ttmp7, 0xffff
	s_add_co_i32 s2, s2, 1
	s_bfe_u32 s13, ttmp6, 0x40014
	s_mul_i32 s2, s3, s2
	s_bfe_u32 s12, ttmp6, 0x40004
	s_lshr_b32 s14, ttmp7, 16
	s_add_co_i32 s13, s13, 1
	s_add_co_i32 s17, s12, s2
	s_mul_i32 s2, s14, s13
	s_bfe_u32 s12, ttmp6, 0x40008
	s_load_b32 s16, s[0:1], 0x4
	s_getreg_b32 s13, hwreg(HW_REG_IB_STS2, 6, 4)
	s_add_co_i32 s12, s12, s2
	s_cmp_eq_u32 s13, 0
	v_dual_mov_b32 v1, 0 :: v_dual_lshlrev_b32 v4, 2, v0
	s_cselect_b32 s14, s14, s12
	s_load_b32 s2, s[0:1], 0x48
	s_wait_kmcnt 0x0
	s_load_b64 s[12:13], s[8:9], s14 offset:0x0 scale_offset
	s_mov_b32 s15, 0
	s_cselect_b32 s17, s3, s17
	v_cmp_gt_i32_e32 vcc_lo, s16, v0
	s_and_saveexec_b32 s18, vcc_lo
	s_cbranch_execz .LBB9_6
; %bb.1:
	s_wait_xcnt 0x0
	s_clause 0x1
	s_load_b32 s8, s[0:1], 0x18
	s_load_b128 s[20:23], s[0:1], 0x8
	v_add3_u32 v5, v4, 0, 0x80
	v_mov_b32_e32 v1, 0
	s_sub_co_i32 s19, 1, s16
	s_delay_alu instid0(VALU_DEP_2)
	v_dual_mov_b32 v7, v0 :: v_dual_mov_b32 v6, v5
	s_wait_kmcnt 0x0
	s_ashr_i32 s9, s8, 31
	s_load_b64 s[0:1], s[20:21], s14 offset:0x0 scale_offset
	v_mul_u64_e32 v[2:3], s[8:9], v[0:1]
	v_cmp_lt_i64_e64 s3, s[8:9], 1
	s_mul_i32 s19, s8, s19
	s_and_b32 s3, s3, exec_lo
	s_wait_xcnt 0x0
	s_cselect_b32 s20, s19, 0
	s_lshl_b64 s[22:23], s[22:23], 2
	s_ashr_i32 s21, s20, 31
	s_lshl_b64 s[8:9], s[8:9], 12
	s_lshl_b64 s[20:21], s[20:21], 2
	s_wait_kmcnt 0x0
	s_add_nc_u64 s[0:1], s[0:1], s[20:21]
	s_delay_alu instid0(SALU_CYCLE_1) | instskip(NEXT) | instid1(SALU_CYCLE_1)
	s_add_nc_u64 s[0:1], s[0:1], s[22:23]
	v_lshl_add_u64 v[2:3], v[2:3], 2, s[0:1]
	s_mov_b32 s1, s15
.LBB9_2:                                ; =>This Inner Loop Header: Depth=1
	flat_load_b32 v8, v[2:3]
	v_add_nc_u32_e32 v7, 0x400, v7
	s_wait_xcnt 0x0
	v_add_nc_u64_e32 v[2:3], s[8:9], v[2:3]
	s_delay_alu instid0(VALU_DEP_2)
	v_cmp_le_i32_e64 s0, s16, v7
	s_or_b32 s1, s0, s1
	s_wait_loadcnt_dscnt 0x0
	ds_store_b32 v6, v8
	v_add_nc_u32_e32 v6, 0x1000, v6
	s_and_not1_b32 exec_lo, exec_lo, s1
	s_cbranch_execnz .LBB9_2
; %bb.3:
	s_or_b32 exec_lo, exec_lo, s1
	s_ashr_i32 s3, s2, 31
	s_lshl_b32 s0, s17, 2
	v_mul_u64_e32 v[2:3], s[2:3], v[0:1]
	s_mov_b32 s1, 0
	s_lshl_b64 s[8:9], s[10:11], 2
	s_add_nc_u64 s[20:21], s[12:13], s[0:1]
	v_dual_mov_b32 v1, 0 :: v_dual_mov_b32 v6, v0
	s_add_nc_u64 s[8:9], s[20:21], s[8:9]
	s_delay_alu instid0(VALU_DEP_2) | instid1(SALU_CYCLE_1)
	v_lshl_add_u64 v[2:3], v[2:3], 2, s[8:9]
	s_lshl_b64 s[8:9], s[2:3], 12
.LBB9_4:                                ; =>This Inner Loop Header: Depth=1
	flat_load_b32 v7, v[2:3]
	ds_load_b32 v8, v5
	v_add_nc_u32_e32 v6, 0x400, v6
	s_wait_xcnt 0x0
	v_add_nc_u64_e32 v[2:3], s[8:9], v[2:3]
	v_add_nc_u32_e32 v5, 0x1000, v5
	s_wait_loadcnt_dscnt 0x0
	v_fmac_f32_e32 v1, v7, v8
	v_cmp_le_i32_e64 s0, s16, v6
	s_or_b32 s1, s0, s1
	s_delay_alu instid0(SALU_CYCLE_1)
	s_and_not1_b32 exec_lo, exec_lo, s1
	s_cbranch_execnz .LBB9_4
; %bb.5:
	s_or_b32 exec_lo, exec_lo, s1
.LBB9_6:
	s_delay_alu instid0(SALU_CYCLE_1) | instskip(SKIP_2) | instid1(VALU_DEP_1)
	s_or_b32 exec_lo, exec_lo, s18
	v_mbcnt_lo_u32_b32 v2, -1, 0
	s_mov_b32 s1, exec_lo
	v_cmp_ne_u32_e64 s0, 31, v2
	s_delay_alu instid0(VALU_DEP_1) | instskip(SKIP_1) | instid1(VALU_DEP_2)
	v_add_co_ci_u32_e64 v3, null, 0, v2, s0
	v_cmp_gt_u32_e64 s0, 30, v2
	v_lshlrev_b32_e32 v3, 2, v3
	s_delay_alu instid0(VALU_DEP_2)
	v_cndmask_b32_e64 v5, 0, 2, s0
	v_cmp_gt_u32_e64 s0, 28, v2
	ds_bpermute_b32 v3, v3, v1
	v_add_lshl_u32 v5, v5, v2, 2
	s_wait_dscnt 0x0
	v_add_f32_e32 v1, v1, v3
	ds_bpermute_b32 v3, v5, v1
	v_cndmask_b32_e64 v5, 0, 4, s0
	v_cmp_gt_u32_e64 s0, 24, v2
	s_delay_alu instid0(VALU_DEP_2) | instskip(SKIP_4) | instid1(VALU_DEP_1)
	v_add_lshl_u32 v5, v5, v2, 2
	s_wait_dscnt 0x0
	v_add_f32_e32 v1, v1, v3
	ds_bpermute_b32 v3, v5, v1
	v_cndmask_b32_e64 v5, 0, 8, s0
	v_add_lshl_u32 v5, v5, v2, 2
	v_lshl_or_b32 v2, v2, 2, 64
	s_wait_dscnt 0x0
	v_add_f32_e32 v1, v1, v3
	ds_bpermute_b32 v3, v5, v1
	s_wait_dscnt 0x0
	v_dual_add_f32 v1, v1, v3 :: v_dual_bitop2_b32 v3, 31, v0 bitop3:0x40
	ds_bpermute_b32 v2, v2, v1
	s_wait_dscnt 0x0
	v_add_f32_e32 v1, v1, v2
	v_cmpx_eq_u32_e32 0, v3
; %bb.7:
	v_lshrrev_b32_e32 v2, 3, v0
	s_delay_alu instid0(VALU_DEP_1)
	v_add_nc_u32_e32 v2, 0, v2
	ds_store_b32 v2, v1
; %bb.8:
	s_or_b32 exec_lo, exec_lo, s1
	s_delay_alu instid0(SALU_CYCLE_1)
	s_mov_b32 s1, exec_lo
	s_wait_dscnt 0x0
	s_barrier_signal -1
	s_barrier_wait -1
	v_cmpx_eq_u32_e32 0, v0
	s_cbranch_execz .LBB9_10
; %bb.9:
	v_mov_b32_e32 v5, 0
	ds_load_2addr_b32 v[2:3], v5 offset0:1 offset1:2
	ds_load_2addr_b32 v[6:7], v5 offset0:3 offset1:4
	ds_load_2addr_b32 v[8:9], v5 offset0:5 offset1:6
	ds_load_2addr_b32 v[10:11], v5 offset0:7 offset1:8
	s_wait_dscnt 0x3
	v_add_f32_e32 v1, v1, v2
	s_delay_alu instid0(VALU_DEP_1) | instskip(SKIP_3) | instid1(VALU_DEP_1)
	v_add_f32_e32 v1, v1, v3
	ds_load_2addr_b32 v[2:3], v5 offset0:9 offset1:10
	s_wait_dscnt 0x3
	v_add_f32_e32 v1, v1, v6
	v_add_f32_e32 v1, v1, v7
	ds_load_2addr_b32 v[6:7], v5 offset0:11 offset1:12
	s_wait_dscnt 0x3
	v_add_f32_e32 v1, v1, v8
	s_delay_alu instid0(VALU_DEP_1) | instskip(SKIP_1) | instid1(VALU_DEP_1)
	v_add_f32_e32 v1, v1, v9
	s_wait_dscnt 0x2
	v_add_f32_e32 v1, v1, v10
	s_delay_alu instid0(VALU_DEP_1) | instskip(SKIP_4) | instid1(VALU_DEP_1)
	v_add_f32_e32 v1, v1, v11
	ds_load_2addr_b32 v[8:9], v5 offset0:13 offset1:14
	ds_load_2addr_b32 v[10:11], v5 offset0:15 offset1:16
	s_wait_dscnt 0x3
	v_add_f32_e32 v1, v1, v2
	v_add_f32_e32 v1, v1, v3
	ds_load_2addr_b32 v[2:3], v5 offset0:17 offset1:18
	s_wait_dscnt 0x3
	v_add_f32_e32 v1, v1, v6
	s_delay_alu instid0(VALU_DEP_1) | instskip(SKIP_3) | instid1(VALU_DEP_1)
	v_add_f32_e32 v1, v1, v7
	ds_load_2addr_b32 v[6:7], v5 offset0:19 offset1:20
	s_wait_dscnt 0x3
	v_add_f32_e32 v1, v1, v8
	v_add_f32_e32 v1, v1, v9
	s_wait_dscnt 0x2
	s_delay_alu instid0(VALU_DEP_1) | instskip(NEXT) | instid1(VALU_DEP_1)
	v_add_f32_e32 v1, v1, v10
	v_add_f32_e32 v1, v1, v11
	ds_load_2addr_b32 v[8:9], v5 offset0:21 offset1:22
	ds_load_2addr_b32 v[10:11], v5 offset0:23 offset1:24
	s_wait_dscnt 0x3
	v_add_f32_e32 v1, v1, v2
	s_delay_alu instid0(VALU_DEP_1) | instskip(SKIP_3) | instid1(VALU_DEP_1)
	v_add_f32_e32 v1, v1, v3
	ds_load_2addr_b32 v[2:3], v5 offset0:25 offset1:26
	s_wait_dscnt 0x3
	v_add_f32_e32 v1, v1, v6
	v_add_f32_e32 v1, v1, v7
	ds_load_2addr_b32 v[6:7], v5 offset0:27 offset1:28
	s_wait_dscnt 0x3
	v_add_f32_e32 v1, v1, v8
	s_delay_alu instid0(VALU_DEP_1) | instskip(SKIP_1) | instid1(VALU_DEP_1)
	v_add_f32_e32 v1, v1, v9
	s_wait_dscnt 0x2
	v_add_f32_e32 v1, v1, v10
	ds_load_2addr_b32 v[8:9], v5 offset0:29 offset1:30
	ds_load_b32 v10, v5 offset:124
	v_add_f32_e32 v1, v1, v11
	s_wait_dscnt 0x3
	s_delay_alu instid0(VALU_DEP_1) | instskip(NEXT) | instid1(VALU_DEP_1)
	v_add_f32_e32 v1, v1, v2
	v_add_f32_e32 v1, v1, v3
	s_wait_dscnt 0x2
	s_delay_alu instid0(VALU_DEP_1) | instskip(NEXT) | instid1(VALU_DEP_1)
	v_add_f32_e32 v1, v1, v6
	;; [unrolled: 4-line block ×3, first 2 shown]
	v_add_f32_e32 v1, v1, v9
	s_wait_dscnt 0x0
	s_delay_alu instid0(VALU_DEP_1)
	v_add_f32_e32 v1, v1, v10
	ds_store_b32 v5, v1
.LBB9_10:
	s_or_b32 exec_lo, exec_lo, s1
	s_wait_dscnt 0x0
	s_barrier_signal -1
	s_barrier_wait -1
	s_and_saveexec_b32 s0, vcc_lo
	s_cbranch_execz .LBB9_13
; %bb.11:
	v_mov_b32_e32 v1, 0
	s_ashr_i32 s3, s2, 31
	s_mul_u64 s[0:1], s[6:7], s[14:15]
	v_add3_u32 v4, v4, 0, 0x80
	s_lshl_b64 s[0:1], s[0:1], 2
	v_mul_u64_e32 v[2:3], s[2:3], v[0:1]
	s_add_nc_u64 s[0:1], s[4:5], s[0:1]
	ds_load_b32 v1, v1
	s_load_b32 s0, s[0:1], 0x0
	s_wait_xcnt 0x0
	s_mov_b32 s1, 0
	s_lshl_b64 s[4:5], s[10:11], 2
	s_lshl_b64 s[2:3], s[2:3], 12
	s_wait_kmcnt 0x0
	s_xor_b32 s8, s0, 0x80000000
	s_lshl_b32 s0, s17, 2
	s_wait_dscnt 0x0
	v_mul_f32_e32 v1, s8, v1
	s_add_nc_u64 s[6:7], s[12:13], s[0:1]
	s_delay_alu instid0(SALU_CYCLE_1) | instskip(NEXT) | instid1(SALU_CYCLE_1)
	s_add_nc_u64 s[4:5], s[6:7], s[4:5]
	v_lshl_add_u64 v[2:3], v[2:3], 2, s[4:5]
.LBB9_12:                               ; =>This Inner Loop Header: Depth=1
	flat_load_b32 v5, v[2:3]
	ds_load_b32 v6, v4
	v_add_nc_u32_e32 v0, 0x400, v0
	s_wait_loadcnt_dscnt 0x0
	v_dual_fmac_f32 v5, v1, v6 :: v_dual_add_nc_u32 v4, 0x1000, v4
	s_delay_alu instid0(VALU_DEP_2) | instskip(SKIP_4) | instid1(SALU_CYCLE_1)
	v_cmp_le_i32_e32 vcc_lo, s16, v0
	flat_store_b32 v[2:3], v5
	s_wait_xcnt 0x0
	v_add_nc_u64_e32 v[2:3], s[2:3], v[2:3]
	s_or_b32 s1, vcc_lo, s1
	s_and_not1_b32 exec_lo, exec_lo, s1
	s_cbranch_execnz .LBB9_12
.LBB9_13:
	s_endpgm
	.section	.rodata,"a",@progbits
	.p2align	6, 0x0
	.amdhsa_kernel _ZN9rocsolver6v33100L17larf_right_kernelILi1024EfiPKPfEEvT1_S5_T2_lS5_lPKT0_lS6_lS5_l
		.amdhsa_group_segment_fixed_size 0
		.amdhsa_private_segment_fixed_size 0
		.amdhsa_kernarg_size 88
		.amdhsa_user_sgpr_count 2
		.amdhsa_user_sgpr_dispatch_ptr 0
		.amdhsa_user_sgpr_queue_ptr 0
		.amdhsa_user_sgpr_kernarg_segment_ptr 1
		.amdhsa_user_sgpr_dispatch_id 0
		.amdhsa_user_sgpr_kernarg_preload_length 0
		.amdhsa_user_sgpr_kernarg_preload_offset 0
		.amdhsa_user_sgpr_private_segment_size 0
		.amdhsa_wavefront_size32 1
		.amdhsa_uses_dynamic_stack 0
		.amdhsa_enable_private_segment 0
		.amdhsa_system_sgpr_workgroup_id_x 1
		.amdhsa_system_sgpr_workgroup_id_y 1
		.amdhsa_system_sgpr_workgroup_id_z 1
		.amdhsa_system_sgpr_workgroup_info 0
		.amdhsa_system_vgpr_workitem_id 0
		.amdhsa_next_free_vgpr 12
		.amdhsa_next_free_sgpr 24
		.amdhsa_named_barrier_count 0
		.amdhsa_reserve_vcc 1
		.amdhsa_float_round_mode_32 0
		.amdhsa_float_round_mode_16_64 0
		.amdhsa_float_denorm_mode_32 3
		.amdhsa_float_denorm_mode_16_64 3
		.amdhsa_fp16_overflow 0
		.amdhsa_memory_ordered 1
		.amdhsa_forward_progress 1
		.amdhsa_inst_pref_size 11
		.amdhsa_round_robin_scheduling 0
		.amdhsa_exception_fp_ieee_invalid_op 0
		.amdhsa_exception_fp_denorm_src 0
		.amdhsa_exception_fp_ieee_div_zero 0
		.amdhsa_exception_fp_ieee_overflow 0
		.amdhsa_exception_fp_ieee_underflow 0
		.amdhsa_exception_fp_ieee_inexact 0
		.amdhsa_exception_int_div_zero 0
	.end_amdhsa_kernel
	.section	.text._ZN9rocsolver6v33100L17larf_right_kernelILi1024EfiPKPfEEvT1_S5_T2_lS5_lPKT0_lS6_lS5_l,"axG",@progbits,_ZN9rocsolver6v33100L17larf_right_kernelILi1024EfiPKPfEEvT1_S5_T2_lS5_lPKT0_lS6_lS5_l,comdat
.Lfunc_end9:
	.size	_ZN9rocsolver6v33100L17larf_right_kernelILi1024EfiPKPfEEvT1_S5_T2_lS5_lPKT0_lS6_lS5_l, .Lfunc_end9-_ZN9rocsolver6v33100L17larf_right_kernelILi1024EfiPKPfEEvT1_S5_T2_lS5_lPKT0_lS6_lS5_l
                                        ; -- End function
	.set _ZN9rocsolver6v33100L17larf_right_kernelILi1024EfiPKPfEEvT1_S5_T2_lS5_lPKT0_lS6_lS5_l.num_vgpr, 12
	.set _ZN9rocsolver6v33100L17larf_right_kernelILi1024EfiPKPfEEvT1_S5_T2_lS5_lPKT0_lS6_lS5_l.num_agpr, 0
	.set _ZN9rocsolver6v33100L17larf_right_kernelILi1024EfiPKPfEEvT1_S5_T2_lS5_lPKT0_lS6_lS5_l.numbered_sgpr, 24
	.set _ZN9rocsolver6v33100L17larf_right_kernelILi1024EfiPKPfEEvT1_S5_T2_lS5_lPKT0_lS6_lS5_l.num_named_barrier, 0
	.set _ZN9rocsolver6v33100L17larf_right_kernelILi1024EfiPKPfEEvT1_S5_T2_lS5_lPKT0_lS6_lS5_l.private_seg_size, 0
	.set _ZN9rocsolver6v33100L17larf_right_kernelILi1024EfiPKPfEEvT1_S5_T2_lS5_lPKT0_lS6_lS5_l.uses_vcc, 1
	.set _ZN9rocsolver6v33100L17larf_right_kernelILi1024EfiPKPfEEvT1_S5_T2_lS5_lPKT0_lS6_lS5_l.uses_flat_scratch, 0
	.set _ZN9rocsolver6v33100L17larf_right_kernelILi1024EfiPKPfEEvT1_S5_T2_lS5_lPKT0_lS6_lS5_l.has_dyn_sized_stack, 0
	.set _ZN9rocsolver6v33100L17larf_right_kernelILi1024EfiPKPfEEvT1_S5_T2_lS5_lPKT0_lS6_lS5_l.has_recursion, 0
	.set _ZN9rocsolver6v33100L17larf_right_kernelILi1024EfiPKPfEEvT1_S5_T2_lS5_lPKT0_lS6_lS5_l.has_indirect_call, 0
	.section	.AMDGPU.csdata,"",@progbits
; Kernel info:
; codeLenInByte = 1368
; TotalNumSgprs: 26
; NumVgprs: 12
; ScratchSize: 0
; MemoryBound: 0
; FloatMode: 240
; IeeeMode: 1
; LDSByteSize: 0 bytes/workgroup (compile time only)
; SGPRBlocks: 0
; VGPRBlocks: 0
; NumSGPRsForWavesPerEU: 26
; NumVGPRsForWavesPerEU: 12
; NamedBarCnt: 0
; Occupancy: 16
; WaveLimiterHint : 0
; COMPUTE_PGM_RSRC2:SCRATCH_EN: 0
; COMPUTE_PGM_RSRC2:USER_SGPR: 2
; COMPUTE_PGM_RSRC2:TRAP_HANDLER: 0
; COMPUTE_PGM_RSRC2:TGID_X_EN: 1
; COMPUTE_PGM_RSRC2:TGID_Y_EN: 1
; COMPUTE_PGM_RSRC2:TGID_Z_EN: 1
; COMPUTE_PGM_RSRC2:TIDIG_COMP_CNT: 0
	.section	.text._ZN9rocsolver6v33100L9get_arrayIfiEEvPPT_S3_lT0_,"axG",@progbits,_ZN9rocsolver6v33100L9get_arrayIfiEEvPPT_S3_lT0_,comdat
	.globl	_ZN9rocsolver6v33100L9get_arrayIfiEEvPPT_S3_lT0_ ; -- Begin function _ZN9rocsolver6v33100L9get_arrayIfiEEvPPT_S3_lT0_
	.p2align	8
	.type	_ZN9rocsolver6v33100L9get_arrayIfiEEvPPT_S3_lT0_,@function
_ZN9rocsolver6v33100L9get_arrayIfiEEvPPT_S3_lT0_: ; @_ZN9rocsolver6v33100L9get_arrayIfiEEvPPT_S3_lT0_
; %bb.0:
	s_clause 0x1
	s_load_b32 s2, s[0:1], 0x2c
	s_load_b32 s3, s[0:1], 0x18
	s_bfe_u32 s4, ttmp6, 0x4000c
	s_and_b32 s5, ttmp6, 15
	s_add_co_i32 s4, s4, 1
	s_getreg_b32 s6, hwreg(HW_REG_IB_STS2, 6, 4)
	s_mul_i32 s4, ttmp9, s4
	s_delay_alu instid0(SALU_CYCLE_1) | instskip(SKIP_4) | instid1(SALU_CYCLE_1)
	s_add_co_i32 s5, s5, s4
	s_wait_kmcnt 0x0
	s_and_b32 s2, s2, 0xffff
	s_cmp_eq_u32 s6, 0
	s_cselect_b32 s4, ttmp9, s5
	v_mad_u32 v0, s4, s2, v0
	s_mov_b32 s2, exec_lo
	s_delay_alu instid0(VALU_DEP_1)
	v_cmpx_gt_i32_e64 s3, v0
	s_cbranch_execz .LBB10_2
; %bb.1:
	s_load_b64 s[2:3], s[0:1], 0x10
	v_ashrrev_i32_e32 v1, 31, v0
	s_wait_kmcnt 0x0
	s_delay_alu instid0(VALU_DEP_1) | instskip(SKIP_2) | instid1(VALU_DEP_1)
	v_mul_u64_e32 v[2:3], s[2:3], v[0:1]
	s_load_b128 s[0:3], s[0:1], 0x0
	s_wait_kmcnt 0x0
	v_lshl_add_u64 v[2:3], v[2:3], 2, s[2:3]
	global_store_b64 v0, v[2:3], s[0:1] scale_offset
.LBB10_2:
	s_endpgm
	.section	.rodata,"a",@progbits
	.p2align	6, 0x0
	.amdhsa_kernel _ZN9rocsolver6v33100L9get_arrayIfiEEvPPT_S3_lT0_
		.amdhsa_group_segment_fixed_size 0
		.amdhsa_private_segment_fixed_size 0
		.amdhsa_kernarg_size 288
		.amdhsa_user_sgpr_count 2
		.amdhsa_user_sgpr_dispatch_ptr 0
		.amdhsa_user_sgpr_queue_ptr 0
		.amdhsa_user_sgpr_kernarg_segment_ptr 1
		.amdhsa_user_sgpr_dispatch_id 0
		.amdhsa_user_sgpr_kernarg_preload_length 0
		.amdhsa_user_sgpr_kernarg_preload_offset 0
		.amdhsa_user_sgpr_private_segment_size 0
		.amdhsa_wavefront_size32 1
		.amdhsa_uses_dynamic_stack 0
		.amdhsa_enable_private_segment 0
		.amdhsa_system_sgpr_workgroup_id_x 1
		.amdhsa_system_sgpr_workgroup_id_y 0
		.amdhsa_system_sgpr_workgroup_id_z 0
		.amdhsa_system_sgpr_workgroup_info 0
		.amdhsa_system_vgpr_workitem_id 0
		.amdhsa_next_free_vgpr 4
		.amdhsa_next_free_sgpr 7
		.amdhsa_named_barrier_count 0
		.amdhsa_reserve_vcc 0
		.amdhsa_float_round_mode_32 0
		.amdhsa_float_round_mode_16_64 0
		.amdhsa_float_denorm_mode_32 3
		.amdhsa_float_denorm_mode_16_64 3
		.amdhsa_fp16_overflow 0
		.amdhsa_memory_ordered 1
		.amdhsa_forward_progress 1
		.amdhsa_inst_pref_size 2
		.amdhsa_round_robin_scheduling 0
		.amdhsa_exception_fp_ieee_invalid_op 0
		.amdhsa_exception_fp_denorm_src 0
		.amdhsa_exception_fp_ieee_div_zero 0
		.amdhsa_exception_fp_ieee_overflow 0
		.amdhsa_exception_fp_ieee_underflow 0
		.amdhsa_exception_fp_ieee_inexact 0
		.amdhsa_exception_int_div_zero 0
	.end_amdhsa_kernel
	.section	.text._ZN9rocsolver6v33100L9get_arrayIfiEEvPPT_S3_lT0_,"axG",@progbits,_ZN9rocsolver6v33100L9get_arrayIfiEEvPPT_S3_lT0_,comdat
.Lfunc_end10:
	.size	_ZN9rocsolver6v33100L9get_arrayIfiEEvPPT_S3_lT0_, .Lfunc_end10-_ZN9rocsolver6v33100L9get_arrayIfiEEvPPT_S3_lT0_
                                        ; -- End function
	.set _ZN9rocsolver6v33100L9get_arrayIfiEEvPPT_S3_lT0_.num_vgpr, 4
	.set _ZN9rocsolver6v33100L9get_arrayIfiEEvPPT_S3_lT0_.num_agpr, 0
	.set _ZN9rocsolver6v33100L9get_arrayIfiEEvPPT_S3_lT0_.numbered_sgpr, 7
	.set _ZN9rocsolver6v33100L9get_arrayIfiEEvPPT_S3_lT0_.num_named_barrier, 0
	.set _ZN9rocsolver6v33100L9get_arrayIfiEEvPPT_S3_lT0_.private_seg_size, 0
	.set _ZN9rocsolver6v33100L9get_arrayIfiEEvPPT_S3_lT0_.uses_vcc, 0
	.set _ZN9rocsolver6v33100L9get_arrayIfiEEvPPT_S3_lT0_.uses_flat_scratch, 0
	.set _ZN9rocsolver6v33100L9get_arrayIfiEEvPPT_S3_lT0_.has_dyn_sized_stack, 0
	.set _ZN9rocsolver6v33100L9get_arrayIfiEEvPPT_S3_lT0_.has_recursion, 0
	.set _ZN9rocsolver6v33100L9get_arrayIfiEEvPPT_S3_lT0_.has_indirect_call, 0
	.section	.AMDGPU.csdata,"",@progbits
; Kernel info:
; codeLenInByte = 160
; TotalNumSgprs: 7
; NumVgprs: 4
; ScratchSize: 0
; MemoryBound: 0
; FloatMode: 240
; IeeeMode: 1
; LDSByteSize: 0 bytes/workgroup (compile time only)
; SGPRBlocks: 0
; VGPRBlocks: 0
; NumSGPRsForWavesPerEU: 7
; NumVGPRsForWavesPerEU: 4
; NamedBarCnt: 0
; Occupancy: 16
; WaveLimiterHint : 0
; COMPUTE_PGM_RSRC2:SCRATCH_EN: 0
; COMPUTE_PGM_RSRC2:USER_SGPR: 2
; COMPUTE_PGM_RSRC2:TRAP_HANDLER: 0
; COMPUTE_PGM_RSRC2:TGID_X_EN: 1
; COMPUTE_PGM_RSRC2:TGID_Y_EN: 0
; COMPUTE_PGM_RSRC2:TGID_Z_EN: 0
; COMPUTE_PGM_RSRC2:TIDIG_COMP_CNT: 0
	.section	.text._ZN9rocsolver6v33100L12restore_diagIfifPKPfEEvPT1_llT2_lT0_lS8_,"axG",@progbits,_ZN9rocsolver6v33100L12restore_diagIfifPKPfEEvPT1_llT2_lT0_lS8_,comdat
	.globl	_ZN9rocsolver6v33100L12restore_diagIfifPKPfEEvPT1_llT2_lT0_lS8_ ; -- Begin function _ZN9rocsolver6v33100L12restore_diagIfifPKPfEEvPT1_llT2_lT0_lS8_
	.p2align	8
	.type	_ZN9rocsolver6v33100L12restore_diagIfifPKPfEEvPT1_llT2_lT0_lS8_,@function
_ZN9rocsolver6v33100L12restore_diagIfifPKPfEEvPT1_llT2_lT0_lS8_: ; @_ZN9rocsolver6v33100L12restore_diagIfifPKPfEEvPT1_llT2_lT0_lS8_
; %bb.0:
	s_clause 0x1
	s_load_u16 s3, s[0:1], 0x4e
	s_load_b32 s4, s[0:1], 0x38
	s_bfe_u32 s2, ttmp6, 0x40010
	s_bfe_u32 s5, ttmp6, 0x40004
	s_add_co_i32 s2, s2, 1
	v_bfe_u32 v0, v0, 10, 10
	s_mul_i32 s2, ttmp7, s2
	s_delay_alu instid0(SALU_CYCLE_1) | instskip(SKIP_1) | instid1(SALU_CYCLE_1)
	s_add_co_i32 s5, s5, s2
	s_getreg_b32 s2, hwreg(HW_REG_IB_STS2, 6, 4)
	s_cmp_eq_u32 s2, 0
	s_cselect_b32 s5, ttmp7, s5
	s_wait_kmcnt 0x0
	v_mad_u32 v0, s5, s3, v0
	s_mov_b32 s3, exec_lo
	s_delay_alu instid0(VALU_DEP_1)
	v_cmpx_gt_i32_e64 s4, v0
	s_cbranch_execz .LBB11_2
; %bb.1:
	s_load_b256 s[4:11], s[0:1], 0x0
	s_bfe_u32 s3, ttmp6, 0x4000c
	s_and_b32 s12, ttmp6, 15
	s_add_co_i32 s3, s3, 1
	s_delay_alu instid0(SALU_CYCLE_1) | instskip(NEXT) | instid1(SALU_CYCLE_1)
	s_mul_i32 s3, ttmp9, s3
	s_add_co_i32 s12, s12, s3
	s_cmp_eq_u32 s2, 0
	s_cselect_b32 s12, ttmp9, s12
	s_delay_alu instid0(SALU_CYCLE_1) | instskip(SKIP_2) | instid1(SALU_CYCLE_1)
	s_ashr_i32 s13, s12, 31
	s_wait_kmcnt 0x0
	s_mul_u64 s[2:3], s[8:9], s[12:13]
	s_lshl_b64 s[2:3], s[2:3], 2
	s_delay_alu instid0(SALU_CYCLE_1) | instskip(SKIP_1) | instid1(SALU_CYCLE_1)
	s_add_nc_u64 s[2:3], s[4:5], s[2:3]
	s_lshl_b64 s[4:5], s[6:7], 2
	s_add_nc_u64 s[2:3], s[2:3], s[4:5]
	s_lshl_b64 s[4:5], s[12:13], 3
	global_load_b32 v1, v0, s[2:3] scale_offset
	s_wait_xcnt 0x0
	s_load_b96 s[0:2], s[0:1], 0x20
	s_add_nc_u64 s[4:5], s[10:11], s[4:5]
	s_load_b64 s[4:5], s[4:5], 0x0
	s_wait_kmcnt 0x0
	v_mad_u32 v0, v0, s2, v0
	s_lshl_b64 s[0:1], s[0:1], 2
	s_delay_alu instid0(SALU_CYCLE_1)
	s_add_nc_u64 s[0:1], s[4:5], s[0:1]
	s_wait_loadcnt 0x0
	flat_store_b32 v0, v1, s[0:1] scale_offset
.LBB11_2:
	s_endpgm
	.section	.rodata,"a",@progbits
	.p2align	6, 0x0
	.amdhsa_kernel _ZN9rocsolver6v33100L12restore_diagIfifPKPfEEvPT1_llT2_lT0_lS8_
		.amdhsa_group_segment_fixed_size 0
		.amdhsa_private_segment_fixed_size 0
		.amdhsa_kernarg_size 320
		.amdhsa_user_sgpr_count 2
		.amdhsa_user_sgpr_dispatch_ptr 0
		.amdhsa_user_sgpr_queue_ptr 0
		.amdhsa_user_sgpr_kernarg_segment_ptr 1
		.amdhsa_user_sgpr_dispatch_id 0
		.amdhsa_user_sgpr_kernarg_preload_length 0
		.amdhsa_user_sgpr_kernarg_preload_offset 0
		.amdhsa_user_sgpr_private_segment_size 0
		.amdhsa_wavefront_size32 1
		.amdhsa_uses_dynamic_stack 0
		.amdhsa_enable_private_segment 0
		.amdhsa_system_sgpr_workgroup_id_x 1
		.amdhsa_system_sgpr_workgroup_id_y 1
		.amdhsa_system_sgpr_workgroup_id_z 0
		.amdhsa_system_sgpr_workgroup_info 0
		.amdhsa_system_vgpr_workitem_id 1
		.amdhsa_next_free_vgpr 2
		.amdhsa_next_free_sgpr 14
		.amdhsa_named_barrier_count 0
		.amdhsa_reserve_vcc 0
		.amdhsa_float_round_mode_32 0
		.amdhsa_float_round_mode_16_64 0
		.amdhsa_float_denorm_mode_32 3
		.amdhsa_float_denorm_mode_16_64 3
		.amdhsa_fp16_overflow 0
		.amdhsa_memory_ordered 1
		.amdhsa_forward_progress 1
		.amdhsa_inst_pref_size 3
		.amdhsa_round_robin_scheduling 0
		.amdhsa_exception_fp_ieee_invalid_op 0
		.amdhsa_exception_fp_denorm_src 0
		.amdhsa_exception_fp_ieee_div_zero 0
		.amdhsa_exception_fp_ieee_overflow 0
		.amdhsa_exception_fp_ieee_underflow 0
		.amdhsa_exception_fp_ieee_inexact 0
		.amdhsa_exception_int_div_zero 0
	.end_amdhsa_kernel
	.section	.text._ZN9rocsolver6v33100L12restore_diagIfifPKPfEEvPT1_llT2_lT0_lS8_,"axG",@progbits,_ZN9rocsolver6v33100L12restore_diagIfifPKPfEEvPT1_llT2_lT0_lS8_,comdat
.Lfunc_end11:
	.size	_ZN9rocsolver6v33100L12restore_diagIfifPKPfEEvPT1_llT2_lT0_lS8_, .Lfunc_end11-_ZN9rocsolver6v33100L12restore_diagIfifPKPfEEvPT1_llT2_lT0_lS8_
                                        ; -- End function
	.set _ZN9rocsolver6v33100L12restore_diagIfifPKPfEEvPT1_llT2_lT0_lS8_.num_vgpr, 2
	.set _ZN9rocsolver6v33100L12restore_diagIfifPKPfEEvPT1_llT2_lT0_lS8_.num_agpr, 0
	.set _ZN9rocsolver6v33100L12restore_diagIfifPKPfEEvPT1_llT2_lT0_lS8_.numbered_sgpr, 14
	.set _ZN9rocsolver6v33100L12restore_diagIfifPKPfEEvPT1_llT2_lT0_lS8_.num_named_barrier, 0
	.set _ZN9rocsolver6v33100L12restore_diagIfifPKPfEEvPT1_llT2_lT0_lS8_.private_seg_size, 0
	.set _ZN9rocsolver6v33100L12restore_diagIfifPKPfEEvPT1_llT2_lT0_lS8_.uses_vcc, 0
	.set _ZN9rocsolver6v33100L12restore_diagIfifPKPfEEvPT1_llT2_lT0_lS8_.uses_flat_scratch, 0
	.set _ZN9rocsolver6v33100L12restore_diagIfifPKPfEEvPT1_llT2_lT0_lS8_.has_dyn_sized_stack, 0
	.set _ZN9rocsolver6v33100L12restore_diagIfifPKPfEEvPT1_llT2_lT0_lS8_.has_recursion, 0
	.set _ZN9rocsolver6v33100L12restore_diagIfifPKPfEEvPT1_llT2_lT0_lS8_.has_indirect_call, 0
	.section	.AMDGPU.csdata,"",@progbits
; Kernel info:
; codeLenInByte = 268
; TotalNumSgprs: 14
; NumVgprs: 2
; ScratchSize: 0
; MemoryBound: 0
; FloatMode: 240
; IeeeMode: 1
; LDSByteSize: 0 bytes/workgroup (compile time only)
; SGPRBlocks: 0
; VGPRBlocks: 0
; NumSGPRsForWavesPerEU: 14
; NumVGPRsForWavesPerEU: 2
; NamedBarCnt: 0
; Occupancy: 16
; WaveLimiterHint : 1
; COMPUTE_PGM_RSRC2:SCRATCH_EN: 0
; COMPUTE_PGM_RSRC2:USER_SGPR: 2
; COMPUTE_PGM_RSRC2:TRAP_HANDLER: 0
; COMPUTE_PGM_RSRC2:TGID_X_EN: 1
; COMPUTE_PGM_RSRC2:TGID_Y_EN: 1
; COMPUTE_PGM_RSRC2:TGID_Z_EN: 0
; COMPUTE_PGM_RSRC2:TIDIG_COMP_CNT: 1
	.section	.text._ZN9rocsolver6v33100L14set_triangularIfPKPfTnNSt9enable_ifIXnt18rocblas_is_complexIT_EEiE4typeELi0EEEviiT0_iilPS6_lSA_il15rocblas_direct_15rocblas_storev_b,"axG",@progbits,_ZN9rocsolver6v33100L14set_triangularIfPKPfTnNSt9enable_ifIXnt18rocblas_is_complexIT_EEiE4typeELi0EEEviiT0_iilPS6_lSA_il15rocblas_direct_15rocblas_storev_b,comdat
	.globl	_ZN9rocsolver6v33100L14set_triangularIfPKPfTnNSt9enable_ifIXnt18rocblas_is_complexIT_EEiE4typeELi0EEEviiT0_iilPS6_lSA_il15rocblas_direct_15rocblas_storev_b ; -- Begin function _ZN9rocsolver6v33100L14set_triangularIfPKPfTnNSt9enable_ifIXnt18rocblas_is_complexIT_EEiE4typeELi0EEEviiT0_iilPS6_lSA_il15rocblas_direct_15rocblas_storev_b
	.p2align	8
	.type	_ZN9rocsolver6v33100L14set_triangularIfPKPfTnNSt9enable_ifIXnt18rocblas_is_complexIT_EEiE4typeELi0EEEviiT0_iilPS6_lSA_il15rocblas_direct_15rocblas_storev_b,@function
_ZN9rocsolver6v33100L14set_triangularIfPKPfTnNSt9enable_ifIXnt18rocblas_is_complexIT_EEiE4typeELi0EEEviiT0_iilPS6_lSA_il15rocblas_direct_15rocblas_storev_b: ; @_ZN9rocsolver6v33100L14set_triangularIfPKPfTnNSt9enable_ifIXnt18rocblas_is_complexIT_EEiE4typeELi0EEEviiT0_iilPS6_lSA_il15rocblas_direct_15rocblas_storev_b
; %bb.0:
	s_clause 0x1
	s_load_b32 s3, s[0:1], 0x64
	s_load_b64 s[18:19], s[0:1], 0x0
	s_bfe_u32 s5, ttmp6, 0x40010
	s_bfe_u32 s8, ttmp6, 0x4000c
	s_and_b32 s4, ttmp7, 0xffff
	s_add_co_i32 s5, s5, 1
	s_add_co_i32 s8, s8, 1
	s_bfe_u32 s6, ttmp6, 0x40004
	s_and_b32 s7, ttmp6, 15
	s_mul_i32 s5, s4, s5
	s_mul_i32 s8, ttmp9, s8
	s_getreg_b32 s2, hwreg(HW_REG_IB_STS2, 6, 4)
	v_and_b32_e32 v1, 0x3ff, v0
	v_bfe_u32 v2, v0, 10, 10
	s_add_co_i32 s6, s6, s5
	s_add_co_i32 s7, s7, s8
	s_mov_b32 s21, 0
	s_wait_kmcnt 0x0
	s_lshr_b32 s5, s3, 16
	s_and_b32 s3, s3, 0xffff
	s_cmp_eq_u32 s2, 0
	s_cselect_b32 s7, ttmp9, s7
	s_cselect_b32 s4, s4, s6
	v_mad_u32 v0, s7, s3, v1
	v_mad_u32 v2, s4, s5, v2
	s_mov_b32 s3, exec_lo
	s_delay_alu instid0(VALU_DEP_1) | instskip(NEXT) | instid1(VALU_DEP_1)
	v_max_u32_e32 v1, v0, v2
	v_cmpx_gt_u32_e64 s19, v1
	s_cbranch_execz .LBB12_36
; %bb.1:
	s_clause 0x2
	s_load_b128 s[4:7], s[0:1], 0x20
	s_load_b64 s[12:13], s[0:1], 0x40
	s_load_b96 s[8:10], s[0:1], 0x30
	s_bfe_u32 s3, ttmp6, 0x40014
	s_lshr_b32 s11, ttmp7, 16
	s_add_co_i32 s3, s3, 1
	s_bfe_u32 s14, ttmp6, 0x40008
	s_mul_i32 s3, s11, s3
	s_delay_alu instid0(SALU_CYCLE_1)
	s_add_co_i32 s14, s14, s3
	s_cmp_eq_u32 s2, 0
	s_cselect_b32 s20, s11, s14
	s_wait_kmcnt 0x0
	s_mul_u64 s[2:3], s[6:7], s[20:21]
	s_mul_u64 s[6:7], s[12:13], s[20:21]
	s_lshl_b64 s[2:3], s[2:3], 2
	s_lshl_b64 s[6:7], s[6:7], 2
	s_add_nc_u64 s[16:17], s[4:5], s[2:3]
	s_add_nc_u64 s[2:3], s[8:9], s[6:7]
	s_mov_b32 s4, exec_lo
	v_cmpx_ne_u32_e64 v2, v0
	s_xor_b32 s8, exec_lo, s4
	s_cbranch_execz .LBB12_34
; %bb.2:
	s_clause 0x1
	s_load_b128 s[4:7], s[0:1], 0x8
	s_load_b96 s[12:14], s[0:1], 0x48
	v_mov_b32_e32 v1, 0
	s_wait_kmcnt 0x0
	s_load_b64 s[0:1], s[4:5], s20 offset:0x0 scale_offset
	s_wait_xcnt 0x0
	s_ashr_i32 s5, s6, 31
	s_mov_b32 s4, s6
	s_delay_alu instid0(SALU_CYCLE_1) | instskip(SKIP_3) | instid1(SALU_CYCLE_1)
	s_lshl_b64 s[20:21], s[4:5], 2
	s_bitcmp1_b32 s14, 0
	s_mov_b32 s5, -1
	s_cselect_b32 s4, -1, 0
	s_xor_b32 s4, s4, -1
	s_cmp_lg_u32 s12, 0xab
	s_wait_kmcnt 0x0
	s_add_nc_u64 s[0:1], s[0:1], s[20:21]
	s_cbranch_scc0 .LBB12_18
; %bb.3:
	s_mov_b32 s5, exec_lo
	v_cmpx_le_u32_e64 v2, v0
	s_xor_b32 s5, exec_lo, s5
	s_cbranch_execz .LBB12_5
; %bb.4:
	s_ashr_i32 s15, s10, 31
	s_mov_b32 s14, s10
	v_mov_b32_e32 v3, 0
	v_mul_u64_e32 v[4:5], s[14:15], v[0:1]
	s_delay_alu instid0(VALU_DEP_1) | instskip(NEXT) | instid1(VALU_DEP_1)
	v_lshl_add_u64 v[4:5], v[4:5], 2, s[2:3]
	v_lshl_add_u64 v[4:5], v[2:3], 2, v[4:5]
	global_store_b32 v[4:5], v3, off
.LBB12_5:
	s_wait_xcnt 0x0
	s_and_not1_saveexec_b32 s5, s5
	s_cbranch_execz .LBB12_17
; %bb.6:
	v_lshl_add_u64 v[4:5], v[0:1], 2, s[16:17]
	s_cmp_lg_u32 s13, 0xb5
	s_mov_b32 s6, -1
	global_load_b32 v6, v[4:5], off
	s_cbranch_scc0 .LBB12_12
; %bb.7:
	v_mov_b32_e32 v3, 0
	s_and_not1_b32 vcc_lo, exec_lo, s4
	s_wait_xcnt 0x0
	s_delay_alu instid0(VALU_DEP_1)
	v_lshlrev_b64_e32 v[4:5], 2, v[2:3]
	s_cbranch_vccnz .LBB12_9
; %bb.8:
	s_sub_co_i32 s6, s18, s19
	s_ashr_i32 s15, s7, 31
	v_dual_mov_b32 v9, v3 :: v_dual_add_nc_u32 v8, s6, v0
	s_mov_b32 s14, s7
	s_mov_b32 s6, 0
	s_delay_alu instid0(VALU_DEP_1) | instskip(SKIP_2) | instid1(VALU_DEP_1)
	v_mul_u64_e32 v[8:9], s[14:15], v[8:9]
	s_ashr_i32 s15, s10, 31
	s_mov_b32 s14, s10
	v_lshl_add_u64 v[8:9], v[8:9], 2, s[0:1]
	s_delay_alu instid0(VALU_DEP_1) | instskip(SKIP_3) | instid1(VALU_DEP_1)
	v_add_nc_u64_e32 v[8:9], v[8:9], v[4:5]
	flat_load_b32 v3, v[8:9]
	s_wait_xcnt 0x0
	v_mul_u64_e32 v[8:9], s[14:15], v[0:1]
	v_lshl_add_u64 v[8:9], v[8:9], 2, s[2:3]
	s_delay_alu instid0(VALU_DEP_1)
	v_add_nc_u64_e32 v[8:9], v[8:9], v[4:5]
	s_wait_loadcnt_dscnt 0x0
	v_mul_f32_e64 v3, v3, -v6
	global_store_b32 v[8:9], v3, off
.LBB12_9:
	s_and_not1_b32 vcc_lo, exec_lo, s6
	s_cbranch_vccnz .LBB12_11
; %bb.10:
	s_sub_co_i32 s6, s18, s19
	s_ashr_i32 s15, s10, 31
	s_wait_xcnt 0x0
	v_dual_mov_b32 v9, 0 :: v_dual_add_nc_u32 v8, s6, v0
	s_mov_b32 s14, s10
	s_ashr_i32 s21, s7, 31
	s_mov_b32 s20, s7
	v_mul_u64_e32 v[10:11], s[14:15], v[0:1]
	v_mul_u64_e32 v[8:9], s[20:21], v[8:9]
	s_delay_alu instid0(VALU_DEP_2) | instskip(NEXT) | instid1(VALU_DEP_2)
	v_lshl_add_u64 v[10:11], v[10:11], 2, s[2:3]
	v_lshl_add_u64 v[8:9], v[8:9], 2, s[0:1]
	s_delay_alu instid0(VALU_DEP_2) | instskip(NEXT) | instid1(VALU_DEP_2)
	v_add_nc_u64_e32 v[10:11], v[10:11], v[4:5]
	v_add_nc_u64_e32 v[4:5], v[8:9], v[4:5]
	global_load_b32 v3, v[10:11], off
	flat_load_b32 v7, v[4:5]
	s_wait_loadcnt_dscnt 0x0
	v_add_f32_e32 v3, v3, v7
	s_delay_alu instid0(VALU_DEP_1)
	v_mul_f32_e64 v3, v3, -v6
	global_store_b32 v[10:11], v3, off
.LBB12_11:
	s_mov_b32 s6, 0
.LBB12_12:
	s_delay_alu instid0(SALU_CYCLE_1)
	s_and_not1_b32 vcc_lo, exec_lo, s6
	s_cbranch_vccnz .LBB12_17
; %bb.13:
	s_and_not1_b32 vcc_lo, exec_lo, s4
	s_mov_b32 s6, -1
	s_cbranch_vccnz .LBB12_15
; %bb.14:
	s_sub_co_i32 s6, s18, s19
	s_wait_xcnt 0x0
	v_dual_mov_b32 v5, 0 :: v_dual_add_nc_u32 v4, s6, v0
	s_ashr_i32 s15, s7, 31
	s_mov_b32 s14, s7
	s_mov_b32 s6, 0
	s_delay_alu instid0(VALU_DEP_1) | instskip(NEXT) | instid1(VALU_DEP_1)
	v_mov_b32_e32 v3, v5
	v_mul_u64_e32 v[8:9], s[14:15], v[2:3]
	s_ashr_i32 s15, s10, 31
	s_mov_b32 s14, s10
	s_delay_alu instid0(VALU_DEP_1) | instskip(NEXT) | instid1(VALU_DEP_1)
	v_lshl_add_u64 v[8:9], v[8:9], 2, s[0:1]
	v_lshl_add_u64 v[4:5], v[4:5], 2, v[8:9]
	flat_load_b32 v7, v[4:5]
	s_wait_xcnt 0x0
	v_mul_u64_e32 v[4:5], s[14:15], v[0:1]
	s_delay_alu instid0(VALU_DEP_1) | instskip(SKIP_2) | instid1(VALU_DEP_2)
	v_lshl_add_u64 v[4:5], v[4:5], 2, s[2:3]
	s_wait_loadcnt_dscnt 0x0
	v_mul_f32_e64 v7, v7, -v6
	v_lshl_add_u64 v[4:5], v[2:3], 2, v[4:5]
	global_store_b32 v[4:5], v7, off
.LBB12_15:
	s_and_not1_b32 vcc_lo, exec_lo, s6
	s_cbranch_vccnz .LBB12_17
; %bb.16:
	s_sub_co_i32 s6, s18, s19
	s_wait_xcnt 0x0
	v_dual_mov_b32 v3, 0 :: v_dual_add_nc_u32 v10, s6, v0
	s_ashr_i32 s15, s10, 31
	s_mov_b32 s14, s10
	s_delay_alu instid0(SALU_CYCLE_1) | instskip(SKIP_4) | instid1(VALU_DEP_3)
	v_mul_u64_e32 v[4:5], s[14:15], v[0:1]
	s_ashr_i32 s15, s7, 31
	s_mov_b32 s14, s7
	v_mov_b32_e32 v11, v3
	v_mul_u64_e32 v[8:9], s[14:15], v[2:3]
	v_lshl_add_u64 v[4:5], v[4:5], 2, s[2:3]
	s_delay_alu instid0(VALU_DEP_2) | instskip(NEXT) | instid1(VALU_DEP_2)
	v_lshl_add_u64 v[8:9], v[8:9], 2, s[0:1]
	v_lshl_add_u64 v[4:5], v[2:3], 2, v[4:5]
	s_delay_alu instid0(VALU_DEP_2) | instskip(SKIP_4) | instid1(VALU_DEP_1)
	v_lshl_add_u64 v[8:9], v[10:11], 2, v[8:9]
	global_load_b32 v3, v[4:5], off
	flat_load_b32 v7, v[8:9]
	s_wait_loadcnt_dscnt 0x0
	v_add_f32_e32 v3, v3, v7
	v_mul_f32_e64 v3, v3, -v6
	global_store_b32 v[4:5], v3, off
.LBB12_17:
	s_wait_xcnt 0x0
	s_or_b32 exec_lo, exec_lo, s5
	s_mov_b32 s5, 0
.LBB12_18:
	s_delay_alu instid0(SALU_CYCLE_1)
	s_and_not1_b32 vcc_lo, exec_lo, s5
	s_cbranch_vccnz .LBB12_34
; %bb.19:
	s_mov_b32 s5, exec_lo
	v_cmpx_ge_u32_e64 v2, v0
	s_xor_b32 s5, exec_lo, s5
	s_cbranch_execz .LBB12_21
; %bb.20:
	s_ashr_i32 s15, s10, 31
	s_mov_b32 s14, s10
	v_mov_b32_e32 v3, 0
	v_mul_u64_e32 v[0:1], s[14:15], v[0:1]
	s_delay_alu instid0(VALU_DEP_1) | instskip(NEXT) | instid1(VALU_DEP_1)
	v_lshl_add_u64 v[0:1], v[0:1], 2, s[2:3]
	v_lshl_add_u64 v[0:1], v[2:3], 2, v[0:1]
                                        ; implicit-def: $vgpr2
	global_store_b32 v[0:1], v3, off
                                        ; implicit-def: $vgpr0_vgpr1
.LBB12_21:
	s_wait_xcnt 0x0
	s_and_not1_saveexec_b32 s5, s5
	s_cbranch_execz .LBB12_33
; %bb.22:
	v_lshl_add_u64 v[4:5], v[0:1], 2, s[16:17]
	v_mov_b32_e32 v3, 0
	s_cmp_lg_u32 s13, 0xb5
	s_mov_b32 s6, -1
	s_wait_loadcnt 0x0
	global_load_b32 v6, v[4:5], off
	s_wait_xcnt 0x0
	v_cndmask_b32_e64 v4, 0, 1, s4
	s_delay_alu instid0(VALU_DEP_1)
	v_cmp_ne_u32_e32 vcc_lo, 1, v4
	s_cbranch_scc0 .LBB12_28
; %bb.23:
	v_lshlrev_b64_e32 v[4:5], 2, v[2:3]
	s_and_b32 vcc_lo, exec_lo, vcc_lo
	s_cbranch_vccnz .LBB12_25
; %bb.24:
	s_ashr_i32 s13, s7, 31
	s_mov_b32 s12, s7
	s_mov_b32 s6, 0
	v_mul_u64_e32 v[8:9], s[12:13], v[0:1]
	s_ashr_i32 s13, s10, 31
	s_mov_b32 s12, s10
	s_delay_alu instid0(VALU_DEP_1) | instskip(NEXT) | instid1(VALU_DEP_1)
	v_lshl_add_u64 v[8:9], v[8:9], 2, s[0:1]
	v_add_nc_u64_e32 v[8:9], v[8:9], v[4:5]
	flat_load_b32 v7, v[8:9]
	s_wait_xcnt 0x0
	v_mul_u64_e32 v[8:9], s[12:13], v[0:1]
	s_delay_alu instid0(VALU_DEP_1) | instskip(NEXT) | instid1(VALU_DEP_1)
	v_lshl_add_u64 v[8:9], v[8:9], 2, s[2:3]
	v_add_nc_u64_e32 v[8:9], v[8:9], v[4:5]
	s_wait_loadcnt_dscnt 0x0
	v_mul_f32_e64 v7, v7, -v6
	global_store_b32 v[8:9], v7, off
.LBB12_25:
	s_and_not1_b32 vcc_lo, exec_lo, s6
	s_cbranch_vccnz .LBB12_27
; %bb.26:
	s_ashr_i32 s13, s10, 31
	s_mov_b32 s12, s10
	s_ashr_i32 s15, s7, 31
	s_mov_b32 s14, s7
	s_wait_xcnt 0x0
	v_mul_u64_e32 v[8:9], s[12:13], v[0:1]
	v_mul_u64_e32 v[10:11], s[14:15], v[0:1]
	s_delay_alu instid0(VALU_DEP_2) | instskip(NEXT) | instid1(VALU_DEP_2)
	v_lshl_add_u64 v[8:9], v[8:9], 2, s[2:3]
	v_lshl_add_u64 v[10:11], v[10:11], 2, s[0:1]
	s_delay_alu instid0(VALU_DEP_2) | instskip(NEXT) | instid1(VALU_DEP_2)
	v_add_nc_u64_e32 v[8:9], v[8:9], v[4:5]
	v_add_nc_u64_e32 v[4:5], v[10:11], v[4:5]
	global_load_b32 v7, v[8:9], off
	flat_load_b32 v10, v[4:5]
	s_wait_loadcnt_dscnt 0x0
	v_add_f32_e32 v4, v7, v10
	s_delay_alu instid0(VALU_DEP_1)
	v_mul_f32_e64 v4, v4, -v6
	global_store_b32 v[8:9], v4, off
.LBB12_27:
	s_mov_b32 s6, 0
.LBB12_28:
	s_delay_alu instid0(SALU_CYCLE_1)
	s_and_not1_b32 vcc_lo, exec_lo, s6
	s_cbranch_vccnz .LBB12_33
; %bb.29:
	s_and_not1_b32 vcc_lo, exec_lo, s4
	s_mov_b32 s4, -1
	s_cbranch_vccnz .LBB12_31
; %bb.30:
	s_ashr_i32 s13, s7, 31
	s_mov_b32 s12, s7
	s_mov_b32 s4, 0
	s_wait_xcnt 0x0
	v_mul_u64_e32 v[4:5], s[12:13], v[2:3]
	s_ashr_i32 s13, s10, 31
	s_mov_b32 s12, s10
	s_delay_alu instid0(VALU_DEP_1) | instskip(NEXT) | instid1(VALU_DEP_1)
	v_lshl_add_u64 v[4:5], v[4:5], 2, s[0:1]
	v_lshl_add_u64 v[4:5], v[0:1], 2, v[4:5]
	flat_load_b32 v7, v[4:5]
	s_wait_xcnt 0x0
	v_mul_u64_e32 v[4:5], s[12:13], v[0:1]
	s_delay_alu instid0(VALU_DEP_1) | instskip(NEXT) | instid1(VALU_DEP_1)
	v_lshl_add_u64 v[4:5], v[4:5], 2, s[2:3]
	v_lshl_add_u64 v[4:5], v[2:3], 2, v[4:5]
	s_wait_loadcnt_dscnt 0x0
	v_mul_f32_e64 v7, v7, -v6
	global_store_b32 v[4:5], v7, off
.LBB12_31:
	s_and_not1_b32 vcc_lo, exec_lo, s4
	s_cbranch_vccnz .LBB12_33
; %bb.32:
	s_ashr_i32 s13, s10, 31
	s_mov_b32 s12, s10
	s_ashr_i32 s15, s7, 31
	s_mov_b32 s14, s7
	s_wait_xcnt 0x0
	v_mul_u64_e32 v[4:5], s[12:13], v[0:1]
	v_mul_u64_e32 v[8:9], s[14:15], v[2:3]
	s_delay_alu instid0(VALU_DEP_2) | instskip(NEXT) | instid1(VALU_DEP_2)
	v_lshl_add_u64 v[4:5], v[4:5], 2, s[2:3]
	v_lshl_add_u64 v[8:9], v[8:9], 2, s[0:1]
	s_delay_alu instid0(VALU_DEP_2) | instskip(NEXT) | instid1(VALU_DEP_2)
	v_lshl_add_u64 v[2:3], v[2:3], 2, v[4:5]
	v_lshl_add_u64 v[0:1], v[0:1], 2, v[8:9]
	global_load_b32 v4, v[2:3], off
	flat_load_b32 v5, v[0:1]
	s_wait_loadcnt_dscnt 0x0
	v_add_f32_e32 v0, v4, v5
	s_delay_alu instid0(VALU_DEP_1)
	v_mul_f32_e64 v0, v0, -v6
	global_store_b32 v[2:3], v0, off
.LBB12_33:
	s_wait_xcnt 0x0
	s_or_b32 exec_lo, exec_lo, s5
                                        ; implicit-def: $vgpr0
.LBB12_34:
	s_and_not1_saveexec_b32 s0, s8
	s_cbranch_execz .LBB12_36
; %bb.35:
	global_load_b32 v4, v0, s[16:17] scale_offset
	v_mov_b32_e32 v1, 0
	s_ashr_i32 s1, s10, 31
	s_mov_b32 s0, s10
	s_delay_alu instid0(VALU_DEP_1) | instid1(SALU_CYCLE_1)
	v_mul_u64_e32 v[2:3], s[0:1], v[0:1]
	s_wait_xcnt 0x0
	v_lshlrev_b64_e32 v[0:1], 2, v[0:1]
	s_delay_alu instid0(VALU_DEP_2) | instskip(NEXT) | instid1(VALU_DEP_1)
	v_lshl_add_u64 v[2:3], v[2:3], 2, s[2:3]
	v_add_nc_u64_e32 v[0:1], v[2:3], v[0:1]
	s_wait_loadcnt 0x0
	global_store_b32 v[0:1], v4, off
.LBB12_36:
	s_endpgm
	.section	.rodata,"a",@progbits
	.p2align	6, 0x0
	.amdhsa_kernel _ZN9rocsolver6v33100L14set_triangularIfPKPfTnNSt9enable_ifIXnt18rocblas_is_complexIT_EEiE4typeELi0EEEviiT0_iilPS6_lSA_il15rocblas_direct_15rocblas_storev_b
		.amdhsa_group_segment_fixed_size 0
		.amdhsa_private_segment_fixed_size 0
		.amdhsa_kernarg_size 344
		.amdhsa_user_sgpr_count 2
		.amdhsa_user_sgpr_dispatch_ptr 0
		.amdhsa_user_sgpr_queue_ptr 0
		.amdhsa_user_sgpr_kernarg_segment_ptr 1
		.amdhsa_user_sgpr_dispatch_id 0
		.amdhsa_user_sgpr_kernarg_preload_length 0
		.amdhsa_user_sgpr_kernarg_preload_offset 0
		.amdhsa_user_sgpr_private_segment_size 0
		.amdhsa_wavefront_size32 1
		.amdhsa_uses_dynamic_stack 0
		.amdhsa_enable_private_segment 0
		.amdhsa_system_sgpr_workgroup_id_x 1
		.amdhsa_system_sgpr_workgroup_id_y 1
		.amdhsa_system_sgpr_workgroup_id_z 1
		.amdhsa_system_sgpr_workgroup_info 0
		.amdhsa_system_vgpr_workitem_id 1
		.amdhsa_next_free_vgpr 12
		.amdhsa_next_free_sgpr 22
		.amdhsa_named_barrier_count 0
		.amdhsa_reserve_vcc 1
		.amdhsa_float_round_mode_32 0
		.amdhsa_float_round_mode_16_64 0
		.amdhsa_float_denorm_mode_32 3
		.amdhsa_float_denorm_mode_16_64 3
		.amdhsa_fp16_overflow 0
		.amdhsa_memory_ordered 1
		.amdhsa_forward_progress 1
		.amdhsa_inst_pref_size 15
		.amdhsa_round_robin_scheduling 0
		.amdhsa_exception_fp_ieee_invalid_op 0
		.amdhsa_exception_fp_denorm_src 0
		.amdhsa_exception_fp_ieee_div_zero 0
		.amdhsa_exception_fp_ieee_overflow 0
		.amdhsa_exception_fp_ieee_underflow 0
		.amdhsa_exception_fp_ieee_inexact 0
		.amdhsa_exception_int_div_zero 0
	.end_amdhsa_kernel
	.section	.text._ZN9rocsolver6v33100L14set_triangularIfPKPfTnNSt9enable_ifIXnt18rocblas_is_complexIT_EEiE4typeELi0EEEviiT0_iilPS6_lSA_il15rocblas_direct_15rocblas_storev_b,"axG",@progbits,_ZN9rocsolver6v33100L14set_triangularIfPKPfTnNSt9enable_ifIXnt18rocblas_is_complexIT_EEiE4typeELi0EEEviiT0_iilPS6_lSA_il15rocblas_direct_15rocblas_storev_b,comdat
.Lfunc_end12:
	.size	_ZN9rocsolver6v33100L14set_triangularIfPKPfTnNSt9enable_ifIXnt18rocblas_is_complexIT_EEiE4typeELi0EEEviiT0_iilPS6_lSA_il15rocblas_direct_15rocblas_storev_b, .Lfunc_end12-_ZN9rocsolver6v33100L14set_triangularIfPKPfTnNSt9enable_ifIXnt18rocblas_is_complexIT_EEiE4typeELi0EEEviiT0_iilPS6_lSA_il15rocblas_direct_15rocblas_storev_b
                                        ; -- End function
	.set _ZN9rocsolver6v33100L14set_triangularIfPKPfTnNSt9enable_ifIXnt18rocblas_is_complexIT_EEiE4typeELi0EEEviiT0_iilPS6_lSA_il15rocblas_direct_15rocblas_storev_b.num_vgpr, 12
	.set _ZN9rocsolver6v33100L14set_triangularIfPKPfTnNSt9enable_ifIXnt18rocblas_is_complexIT_EEiE4typeELi0EEEviiT0_iilPS6_lSA_il15rocblas_direct_15rocblas_storev_b.num_agpr, 0
	.set _ZN9rocsolver6v33100L14set_triangularIfPKPfTnNSt9enable_ifIXnt18rocblas_is_complexIT_EEiE4typeELi0EEEviiT0_iilPS6_lSA_il15rocblas_direct_15rocblas_storev_b.numbered_sgpr, 22
	.set _ZN9rocsolver6v33100L14set_triangularIfPKPfTnNSt9enable_ifIXnt18rocblas_is_complexIT_EEiE4typeELi0EEEviiT0_iilPS6_lSA_il15rocblas_direct_15rocblas_storev_b.num_named_barrier, 0
	.set _ZN9rocsolver6v33100L14set_triangularIfPKPfTnNSt9enable_ifIXnt18rocblas_is_complexIT_EEiE4typeELi0EEEviiT0_iilPS6_lSA_il15rocblas_direct_15rocblas_storev_b.private_seg_size, 0
	.set _ZN9rocsolver6v33100L14set_triangularIfPKPfTnNSt9enable_ifIXnt18rocblas_is_complexIT_EEiE4typeELi0EEEviiT0_iilPS6_lSA_il15rocblas_direct_15rocblas_storev_b.uses_vcc, 1
	.set _ZN9rocsolver6v33100L14set_triangularIfPKPfTnNSt9enable_ifIXnt18rocblas_is_complexIT_EEiE4typeELi0EEEviiT0_iilPS6_lSA_il15rocblas_direct_15rocblas_storev_b.uses_flat_scratch, 0
	.set _ZN9rocsolver6v33100L14set_triangularIfPKPfTnNSt9enable_ifIXnt18rocblas_is_complexIT_EEiE4typeELi0EEEviiT0_iilPS6_lSA_il15rocblas_direct_15rocblas_storev_b.has_dyn_sized_stack, 0
	.set _ZN9rocsolver6v33100L14set_triangularIfPKPfTnNSt9enable_ifIXnt18rocblas_is_complexIT_EEiE4typeELi0EEEviiT0_iilPS6_lSA_il15rocblas_direct_15rocblas_storev_b.has_recursion, 0
	.set _ZN9rocsolver6v33100L14set_triangularIfPKPfTnNSt9enable_ifIXnt18rocblas_is_complexIT_EEiE4typeELi0EEEviiT0_iilPS6_lSA_il15rocblas_direct_15rocblas_storev_b.has_indirect_call, 0
	.section	.AMDGPU.csdata,"",@progbits
; Kernel info:
; codeLenInByte = 1852
; TotalNumSgprs: 24
; NumVgprs: 12
; ScratchSize: 0
; MemoryBound: 0
; FloatMode: 240
; IeeeMode: 1
; LDSByteSize: 0 bytes/workgroup (compile time only)
; SGPRBlocks: 0
; VGPRBlocks: 0
; NumSGPRsForWavesPerEU: 24
; NumVGPRsForWavesPerEU: 12
; NamedBarCnt: 0
; Occupancy: 16
; WaveLimiterHint : 1
; COMPUTE_PGM_RSRC2:SCRATCH_EN: 0
; COMPUTE_PGM_RSRC2:USER_SGPR: 2
; COMPUTE_PGM_RSRC2:TRAP_HANDLER: 0
; COMPUTE_PGM_RSRC2:TGID_X_EN: 1
; COMPUTE_PGM_RSRC2:TGID_Y_EN: 1
; COMPUTE_PGM_RSRC2:TGID_Z_EN: 1
; COMPUTE_PGM_RSRC2:TIDIG_COMP_CNT: 1
	.section	.text._ZN9rocsolver6v33100L7set_tauIfEEviPT_l,"axG",@progbits,_ZN9rocsolver6v33100L7set_tauIfEEviPT_l,comdat
	.globl	_ZN9rocsolver6v33100L7set_tauIfEEviPT_l ; -- Begin function _ZN9rocsolver6v33100L7set_tauIfEEviPT_l
	.p2align	8
	.type	_ZN9rocsolver6v33100L7set_tauIfEEviPT_l,@function
_ZN9rocsolver6v33100L7set_tauIfEEviPT_l: ; @_ZN9rocsolver6v33100L7set_tauIfEEviPT_l
; %bb.0:
	s_clause 0x1
	s_load_b32 s3, s[0:1], 0x24
	s_load_b32 s4, s[0:1], 0x0
	s_bfe_u32 s2, ttmp6, 0x4000c
	s_and_b32 s5, ttmp6, 15
	s_add_co_i32 s6, s2, 1
	s_getreg_b32 s2, hwreg(HW_REG_IB_STS2, 6, 4)
	s_mul_i32 s6, ttmp9, s6
	s_delay_alu instid0(SALU_CYCLE_1) | instskip(SKIP_4) | instid1(SALU_CYCLE_1)
	s_add_co_i32 s5, s5, s6
	s_wait_kmcnt 0x0
	s_and_b32 s3, s3, 0xffff
	s_cmp_eq_u32 s2, 0
	s_cselect_b32 s5, ttmp9, s5
	v_mad_u32 v0, s5, s3, v0
	s_mov_b32 s3, 0
	s_delay_alu instid0(VALU_DEP_1)
	v_cmp_gt_u32_e32 vcc_lo, s4, v0
	s_and_saveexec_b32 s4, vcc_lo
	s_cbranch_execz .LBB13_2
; %bb.1:
	s_load_b128 s[4:7], s[0:1], 0x8
	s_wait_xcnt 0x0
	s_bfe_u32 s0, ttmp6, 0x40010
	s_bfe_u32 s1, ttmp6, 0x40004
	s_add_co_i32 s0, s0, 1
	s_delay_alu instid0(SALU_CYCLE_1) | instskip(NEXT) | instid1(SALU_CYCLE_1)
	s_mul_i32 s0, ttmp7, s0
	s_add_co_i32 s1, s1, s0
	s_cmp_eq_u32 s2, 0
	s_cselect_b32 s2, ttmp7, s1
	s_wait_kmcnt 0x0
	s_mul_u64 s[0:1], s[6:7], s[2:3]
	s_delay_alu instid0(SALU_CYCLE_1) | instskip(NEXT) | instid1(SALU_CYCLE_1)
	s_lshl_b64 s[0:1], s[0:1], 2
	s_add_nc_u64 s[0:1], s[4:5], s[0:1]
	global_load_b32 v1, v0, s[0:1] scale_offset
	s_wait_loadcnt 0x0
	v_xor_b32_e32 v1, 0x80000000, v1
	global_store_b32 v0, v1, s[0:1] scale_offset
.LBB13_2:
	s_endpgm
	.section	.rodata,"a",@progbits
	.p2align	6, 0x0
	.amdhsa_kernel _ZN9rocsolver6v33100L7set_tauIfEEviPT_l
		.amdhsa_group_segment_fixed_size 0
		.amdhsa_private_segment_fixed_size 0
		.amdhsa_kernarg_size 280
		.amdhsa_user_sgpr_count 2
		.amdhsa_user_sgpr_dispatch_ptr 0
		.amdhsa_user_sgpr_queue_ptr 0
		.amdhsa_user_sgpr_kernarg_segment_ptr 1
		.amdhsa_user_sgpr_dispatch_id 0
		.amdhsa_user_sgpr_kernarg_preload_length 0
		.amdhsa_user_sgpr_kernarg_preload_offset 0
		.amdhsa_user_sgpr_private_segment_size 0
		.amdhsa_wavefront_size32 1
		.amdhsa_uses_dynamic_stack 0
		.amdhsa_enable_private_segment 0
		.amdhsa_system_sgpr_workgroup_id_x 1
		.amdhsa_system_sgpr_workgroup_id_y 1
		.amdhsa_system_sgpr_workgroup_id_z 0
		.amdhsa_system_sgpr_workgroup_info 0
		.amdhsa_system_vgpr_workitem_id 0
		.amdhsa_next_free_vgpr 2
		.amdhsa_next_free_sgpr 8
		.amdhsa_named_barrier_count 0
		.amdhsa_reserve_vcc 1
		.amdhsa_float_round_mode_32 0
		.amdhsa_float_round_mode_16_64 0
		.amdhsa_float_denorm_mode_32 3
		.amdhsa_float_denorm_mode_16_64 3
		.amdhsa_fp16_overflow 0
		.amdhsa_memory_ordered 1
		.amdhsa_forward_progress 1
		.amdhsa_inst_pref_size 2
		.amdhsa_round_robin_scheduling 0
		.amdhsa_exception_fp_ieee_invalid_op 0
		.amdhsa_exception_fp_denorm_src 0
		.amdhsa_exception_fp_ieee_div_zero 0
		.amdhsa_exception_fp_ieee_overflow 0
		.amdhsa_exception_fp_ieee_underflow 0
		.amdhsa_exception_fp_ieee_inexact 0
		.amdhsa_exception_int_div_zero 0
	.end_amdhsa_kernel
	.section	.text._ZN9rocsolver6v33100L7set_tauIfEEviPT_l,"axG",@progbits,_ZN9rocsolver6v33100L7set_tauIfEEviPT_l,comdat
.Lfunc_end13:
	.size	_ZN9rocsolver6v33100L7set_tauIfEEviPT_l, .Lfunc_end13-_ZN9rocsolver6v33100L7set_tauIfEEviPT_l
                                        ; -- End function
	.set _ZN9rocsolver6v33100L7set_tauIfEEviPT_l.num_vgpr, 2
	.set _ZN9rocsolver6v33100L7set_tauIfEEviPT_l.num_agpr, 0
	.set _ZN9rocsolver6v33100L7set_tauIfEEviPT_l.numbered_sgpr, 8
	.set _ZN9rocsolver6v33100L7set_tauIfEEviPT_l.num_named_barrier, 0
	.set _ZN9rocsolver6v33100L7set_tauIfEEviPT_l.private_seg_size, 0
	.set _ZN9rocsolver6v33100L7set_tauIfEEviPT_l.uses_vcc, 1
	.set _ZN9rocsolver6v33100L7set_tauIfEEviPT_l.uses_flat_scratch, 0
	.set _ZN9rocsolver6v33100L7set_tauIfEEviPT_l.has_dyn_sized_stack, 0
	.set _ZN9rocsolver6v33100L7set_tauIfEEviPT_l.has_recursion, 0
	.set _ZN9rocsolver6v33100L7set_tauIfEEviPT_l.has_indirect_call, 0
	.section	.AMDGPU.csdata,"",@progbits
; Kernel info:
; codeLenInByte = 212
; TotalNumSgprs: 10
; NumVgprs: 2
; ScratchSize: 0
; MemoryBound: 0
; FloatMode: 240
; IeeeMode: 1
; LDSByteSize: 0 bytes/workgroup (compile time only)
; SGPRBlocks: 0
; VGPRBlocks: 0
; NumSGPRsForWavesPerEU: 10
; NumVGPRsForWavesPerEU: 2
; NamedBarCnt: 0
; Occupancy: 16
; WaveLimiterHint : 0
; COMPUTE_PGM_RSRC2:SCRATCH_EN: 0
; COMPUTE_PGM_RSRC2:USER_SGPR: 2
; COMPUTE_PGM_RSRC2:TRAP_HANDLER: 0
; COMPUTE_PGM_RSRC2:TGID_X_EN: 1
; COMPUTE_PGM_RSRC2:TGID_Y_EN: 1
; COMPUTE_PGM_RSRC2:TGID_Z_EN: 0
; COMPUTE_PGM_RSRC2:TIDIG_COMP_CNT: 0
	.section	.text._ZN9rocsolver6v33100L20larft_kernel_forwardIfPKPfEEv15rocblas_storev_iiT0_iilPT_lS8_il,"axG",@progbits,_ZN9rocsolver6v33100L20larft_kernel_forwardIfPKPfEEv15rocblas_storev_iiT0_iilPT_lS8_il,comdat
	.globl	_ZN9rocsolver6v33100L20larft_kernel_forwardIfPKPfEEv15rocblas_storev_iiT0_iilPT_lS8_il ; -- Begin function _ZN9rocsolver6v33100L20larft_kernel_forwardIfPKPfEEv15rocblas_storev_iiT0_iilPT_lS8_il
	.p2align	8
	.type	_ZN9rocsolver6v33100L20larft_kernel_forwardIfPKPfEEv15rocblas_storev_iiT0_iilPT_lS8_il,@function
_ZN9rocsolver6v33100L20larft_kernel_forwardIfPKPfEEv15rocblas_storev_iiT0_iilPT_lS8_il: ; @_ZN9rocsolver6v33100L20larft_kernel_forwardIfPKPfEEv15rocblas_storev_iiT0_iilPT_lS8_il
; %bb.0:
	s_clause 0x2
	s_load_b32 s2, s[0:1], 0x5c
	s_load_b64 s[4:5], s[0:1], 0x10
	s_load_b64 s[20:21], s[0:1], 0x48
	s_bfe_u32 s3, ttmp6, 0x40010
	s_bfe_u32 s6, ttmp6, 0x40004
	s_add_co_i32 s3, s3, 1
	s_getreg_b32 s7, hwreg(HW_REG_IB_STS2, 6, 4)
	s_mul_i32 s8, ttmp7, s3
	s_load_b96 s[12:14], s[0:1], 0x38
	s_add_co_i32 s6, s6, s8
	s_load_b96 s[8:10], s[0:1], 0x0
	v_dual_lshlrev_b32 v10, 1, v0 :: v_dual_lshlrev_b32 v2, 2, v0
	s_wait_kmcnt 0x0
	s_and_b32 s3, s2, 0xffff
	s_cmp_eq_u32 s7, 0
	s_cselect_b32 s18, ttmp7, s6
	s_delay_alu instid0(SALU_CYCLE_1) | instskip(NEXT) | instid1(SALU_CYCLE_1)
	s_ashr_i32 s19, s18, 31
	s_lshl_b64 s[6:7], s[18:19], 3
	s_delay_alu instid0(SALU_CYCLE_1)
	s_add_nc_u64 s[22:23], s[4:5], s[6:7]
	s_load_b128 s[4:7], s[0:1], 0x28
	s_load_b64 s[16:17], s[22:23], 0x0
	s_wait_xcnt 0x0
	s_mul_u64 s[22:23], s[20:21], s[18:19]
	v_cmp_gt_i32_e64 s2, s10, v0
	v_xad_u32 v1, v0, -1, s10
	v_sub_nc_u32_e32 v11, s10, v0
	s_lshl_b64 s[22:23], s[22:23], 2
	s_lshl_b32 s11, s10, 2
	s_mov_b32 s20, 0
	s_add_nc_u64 s[12:13], s[12:13], s[22:23]
	s_add_co_i32 s15, s11, 0
	s_and_saveexec_b32 s21, s2
	s_cbranch_execz .LBB14_12
; %bb.1:
	v_dual_lshlrev_b32 v3, 1, v0 :: v_dual_sub_nc_u32 v12, s10, v0
	s_lshl_b32 s22, s3, 1
	s_cmp_lg_u32 s14, 1
	v_add3_u32 v13, 0, s11, v2
	s_delay_alu instid0(VALU_DEP_2)
	v_dual_mov_b32 v14, v3 :: v_dual_mov_b32 v4, v0
	s_cselect_b32 s26, -1, 0
	s_mov_b32 s23, s10
	s_mov_b32 s24, s10
	s_lshl_b32 s25, s3, 2
	s_xor_b32 s26, s26, -1
	s_mov_b32 s27, 0
	s_branch .LBB14_3
.LBB14_2:                               ;   in Loop: Header=BB14_3 Depth=1
	s_or_b32 exec_lo, exec_lo, s29
	v_dual_add_nc_u32 v4, s3, v4 :: v_dual_add_nc_u32 v14, s22, v14
	v_subrev_nc_u32_e32 v12, s3, v12
	v_add_nc_u32_e32 v13, s25, v13
	s_add_co_i32 s27, s27, 1
	s_delay_alu instid0(VALU_DEP_3) | instskip(SKIP_1) | instid1(SALU_CYCLE_1)
	v_cmp_le_i32_e32 vcc_lo, s10, v4
	s_or_b32 s20, vcc_lo, s20
	s_and_not1_b32 exec_lo, exec_lo, s20
	s_cbranch_execz .LBB14_12
.LBB14_3:                               ; =>This Loop Header: Depth=1
                                        ;     Child Loop BB14_6 Depth 2
                                        ;     Child Loop BB14_11 Depth 2
	s_mul_i32 s30, s27, s3
	s_mov_b32 s29, exec_lo
	v_add_nc_u32_e32 v5, s30, v0
	s_delay_alu instid0(VALU_DEP_1) | instskip(NEXT) | instid1(VALU_DEP_1)
	v_dual_sub_nc_u32 v15, s10, v5 :: v_dual_mov_b32 v5, v4
	v_cmp_gt_u32_e64 s28, 4, v15
	v_cmpx_lt_u32_e32 3, v15
	s_cbranch_execz .LBB14_9
; %bb.4:                                ;   in Loop: Header=BB14_3 Depth=1
	v_mad_u32 v5, s22, s27, v3
	v_subrev_nc_u32_e32 v6, s30, v1
	s_mov_b32 s31, -1
	s_delay_alu instid0(VALU_DEP_1) | instskip(NEXT) | instid1(VALU_DEP_1)
	v_add_nc_u32_e32 v6, v5, v6
	v_cmp_ge_i32_e32 vcc_lo, v6, v5
	v_mov_b32_e32 v5, v4
	s_and_b32 s33, s26, vcc_lo
	s_delay_alu instid0(SALU_CYCLE_1)
	s_and_saveexec_b32 s30, s33
	s_cbranch_execz .LBB14_8
; %bb.5:                                ;   in Loop: Header=BB14_3 Depth=1
	v_dual_mov_b32 v6, v14 :: v_dual_add_nc_u32 v5, 1, v4
	v_and_b32_e32 v16, -2, v12
	v_lshl_add_u32 v17, v4, 2, s15
	s_mov_b32 s31, 0
	s_delay_alu instid0(VALU_DEP_3)
	v_mov_b64_e32 v[8:9], v[4:5]
.LBB14_6:                               ;   Parent Loop BB14_3 Depth=1
                                        ; =>  This Inner Loop Header: Depth=2
	s_delay_alu instid0(VALU_DEP_3) | instskip(NEXT) | instid1(VALU_DEP_2)
	v_dual_ashrrev_i32 v7, 31, v6 :: v_dual_add_nc_u32 v16, -2, v16
	v_mul_lo_u32 v5, v8, s23
	v_add_nc_u32_e32 v8, 2, v8
	s_delay_alu instid0(VALU_DEP_3)
	v_lshl_add_u64 v[18:19], v[6:7], 2, s[12:13]
	v_mul_lo_u32 v7, v9, s24
	v_cmp_eq_u32_e32 vcc_lo, 0, v16
	v_dual_add_nc_u32 v9, 2, v9 :: v_dual_add_nc_u32 v6, 2, v6
	global_load_b64 v[18:19], v[18:19], off
	s_or_b32 s31, vcc_lo, s31
	v_lshl_add_u32 v5, v5, 2, v17
	v_lshl_add_u32 v7, v7, 2, v17
	s_wait_loadcnt 0x0
	ds_store_b32 v5, v18
	ds_store_b32 v7, v19
	s_wait_xcnt 0x0
	s_and_not1_b32 exec_lo, exec_lo, s31
	s_cbranch_execnz .LBB14_6
; %bb.7:                                ;   in Loop: Header=BB14_3 Depth=1
	s_or_b32 exec_lo, exec_lo, s31
	v_and_b32_e32 v5, -2, v15
	s_delay_alu instid0(VALU_DEP_1)
	v_cmp_ne_u32_e32 vcc_lo, v15, v5
	v_add_nc_u32_e32 v5, v4, v5
	s_or_not1_b32 s31, vcc_lo, exec_lo
.LBB14_8:                               ;   in Loop: Header=BB14_3 Depth=1
	s_or_b32 exec_lo, exec_lo, s30
	s_delay_alu instid0(SALU_CYCLE_1) | instskip(SKIP_1) | instid1(SALU_CYCLE_1)
	s_and_not1_b32 s28, s28, exec_lo
	s_and_b32 s30, s31, exec_lo
	s_or_b32 s28, s28, s30
.LBB14_9:                               ;   in Loop: Header=BB14_3 Depth=1
	s_or_b32 exec_lo, exec_lo, s29
	s_and_saveexec_b32 s29, s28
	s_cbranch_execz .LBB14_2
; %bb.10:                               ;   in Loop: Header=BB14_3 Depth=1
	v_mad_u32 v6, s11, v5, v13
	v_mad_u32 v7, s14, v5, v4
	s_mov_b32 s28, 0
.LBB14_11:                              ;   Parent Loop BB14_3 Depth=1
                                        ; =>  This Inner Loop Header: Depth=2
	global_load_b32 v8, v7, s[12:13] scale_offset
	s_wait_xcnt 0x0
	v_dual_add_nc_u32 v5, 1, v5 :: v_dual_add_nc_u32 v7, s14, v7
	s_delay_alu instid0(VALU_DEP_1)
	v_cmp_le_i32_e32 vcc_lo, s10, v5
	s_or_b32 s28, vcc_lo, s28
	s_wait_loadcnt 0x0
	ds_store_b32 v6, v8
	v_add_nc_u32_e32 v6, s11, v6
	s_and_not1_b32 exec_lo, exec_lo, s28
	s_cbranch_execnz .LBB14_11
	s_branch .LBB14_2
.LBB14_12:
	s_or_b32 exec_lo, exec_lo, s21
	s_cmp_lt_i32 s10, 2
	s_wait_dscnt 0x0
	s_barrier_signal -1
	s_barrier_wait -1
	s_cbranch_scc1 .LBB14_37
; %bb.13:
	s_load_b64 s[0:1], s[0:1], 0x18
	v_dual_add_nc_u32 v3, 4, v2 :: v_dual_add_nc_u32 v14, 0, v2
	s_wait_kmcnt 0x0
	s_mul_u64 s[18:19], s[6:7], s[18:19]
	s_mov_b32 s33, 1
	s_lshl_b64 s[18:19], s[18:19], 2
	v_mul_lo_u32 v4, s10, v3
	v_mov_b32_e32 v3, 0
	s_add_nc_u64 s[4:5], s[4:5], s[18:19]
	s_mov_b32 s7, 0
	s_delay_alu instid0(VALU_DEP_2)
	v_add3_u32 v12, v4, v2, 0
	s_ashr_i32 s19, s0, 31
	s_mov_b32 s18, s0
	s_cmp_lg_u32 s8, 0xb5
	v_mul_lo_u32 v13, v0, s1
	s_cselect_b32 s8, -1, 0
	s_lshl_b64 s[24:25], s[18:19], 2
	s_mov_b32 s22, s1
	v_add_nc_u64_e32 v[4:5], s[24:25], v[2:3]
	s_ashr_i32 s23, s1, 31
	s_add_co_i32 s36, s11, 4
	s_add_nc_u64 s[26:27], s[16:17], s[24:25]
	s_add_co_i32 s34, s9, -2
	s_lshl_b32 s18, s1, 1
	s_lshl_b32 s6, s3, 2
	s_add_nc_u64 s[20:21], s[24:25], 4
	s_lshl_b64 s[22:23], s[22:23], 2
	s_add_nc_u64 s[24:25], s[26:27], 8
	s_mul_i32 s35, s1, s3
	s_mul_i32 s36, s36, s3
	s_mov_b32 s26, s1
	s_branch .LBB14_15
.LBB14_14:                              ;   in Loop: Header=BB14_15 Depth=1
	s_or_b32 exec_lo, exec_lo, s0
	s_add_co_i32 s33, s33, 1
	s_add_co_i32 s34, s34, -1
	s_add_co_i32 s18, s18, s1
	s_add_co_i32 s26, s26, s1
	s_add_nc_u64 s[20:21], s[20:21], 4
	s_cmp_eq_u32 s33, s10
	s_add_nc_u64 s[24:25], s[24:25], 4
	s_wait_dscnt 0x0
	s_barrier_signal -1
	s_barrier_wait -1
	s_cbranch_scc1 .LBB14_37
.LBB14_15:                              ; =>This Loop Header: Depth=1
                                        ;     Child Loop BB14_19 Depth 2
                                        ;       Child Loop BB14_21 Depth 3
                                        ;     Child Loop BB14_28 Depth 2
                                        ;       Child Loop BB14_30 Depth 3
	;; [unrolled: 2-line block ×3, first 2 shown]
	s_mul_i32 s0, s33, s10
	s_not_b32 s19, s33
	s_lshl_b32 s0, s0, 2
	s_add_co_i32 s38, s9, s19
	s_add_co_i32 s37, s15, s0
	v_cmp_gt_u32_e64 s0, s33, v0
	s_and_b32 vcc_lo, exec_lo, s8
	s_mov_b32 s19, -1
	s_cbranch_vccz .LBB14_23
; %bb.16:                               ;   in Loop: Header=BB14_15 Depth=1
	s_and_saveexec_b32 s27, s0
	s_cbranch_execz .LBB14_22
; %bb.17:                               ;   in Loop: Header=BB14_15 Depth=1
	s_load_b32 s0, s[4:5], s33 offset:0x0 scale_offset
	s_ashr_i32 s19, s18, 31
	v_mov_b64_e32 v[6:7], v[4:5]
	s_lshl_b64 s[28:29], s[18:19], 2
	v_mov_b32_e32 v8, v0
	s_cmp_gt_i32 s38, 0
	s_add_nc_u64 s[28:29], s[16:17], s[28:29]
	s_cselect_b32 s19, -1, 0
	s_mov_b32 s39, 0
	s_branch .LBB14_19
.LBB14_18:                              ;   in Loop: Header=BB14_19 Depth=2
	v_dual_lshlrev_b32 v15, 2, v8 :: v_dual_add_nc_u32 v8, s3, v8
	v_add_nc_u64_e32 v[6:7], s[6:7], v[6:7]
	s_wait_xcnt 0x0
	s_delay_alu instid0(VALU_DEP_2) | instskip(NEXT) | instid1(VALU_DEP_3)
	v_add_nc_u32_e32 v16, s37, v15
	v_cmp_le_u32_e32 vcc_lo, s33, v8
	ds_load_b32 v16, v16
	s_or_b32 s39, vcc_lo, s39
	s_wait_dscnt 0x0
	s_wait_kmcnt 0x0
	v_dual_fmac_f32 v16, s0, v9 :: v_dual_add_nc_u32 v9, 0, v15
	ds_store_b32 v9, v16
	s_and_not1_b32 exec_lo, exec_lo, s39
	s_cbranch_execz .LBB14_22
.LBB14_19:                              ;   Parent Loop BB14_15 Depth=1
                                        ; =>  This Loop Header: Depth=2
                                        ;       Child Loop BB14_21 Depth 3
	v_mov_b32_e32 v9, 0
	s_and_not1_b32 vcc_lo, exec_lo, s19
	s_cbranch_vccnz .LBB14_18
; %bb.20:                               ;   in Loop: Header=BB14_19 Depth=2
	s_mov_b32 s40, 0
	s_mov_b64 s[30:31], s[28:29]
.LBB14_21:                              ;   Parent Loop BB14_15 Depth=1
                                        ;     Parent Loop BB14_19 Depth=2
                                        ; =>    This Inner Loop Header: Depth=3
	s_wait_xcnt 0x0
	v_add_nc_u64_e32 v[16:17], s[30:31], v[6:7]
	s_add_nc_u64 s[42:43], s[30:31], s[20:21]
	s_add_co_i32 s40, s40, 1
	s_add_nc_u64 s[30:31], s[30:31], s[22:23]
	s_cmp_eq_u32 s34, s40
	s_clause 0x1
	flat_load_b32 v15, v[16:17]
	flat_load_b32 v18, v3, s[42:43]
	s_wait_loadcnt_dscnt 0x0
	v_fmac_f32_e32 v9, v15, v18
	s_cbranch_scc0 .LBB14_21
	s_branch .LBB14_18
.LBB14_22:                              ;   in Loop: Header=BB14_15 Depth=1
	s_or_b32 exec_lo, exec_lo, s27
	s_mov_b32 s19, 0
.LBB14_23:                              ;   in Loop: Header=BB14_15 Depth=1
	s_delay_alu instid0(SALU_CYCLE_1)
	s_and_not1_b32 vcc_lo, exec_lo, s19
	s_cbranch_vccnz .LBB14_32
; %bb.24:                               ;   in Loop: Header=BB14_15 Depth=1
	s_mov_b32 s0, exec_lo
	v_cmpx_gt_u32_e64 s33, v0
	s_cbranch_execz .LBB14_31
; %bb.25:                               ;   in Loop: Header=BB14_15 Depth=1
	s_load_b32 s19, s[4:5], s33 offset:0x0 scale_offset
	s_ashr_i32 s27, s26, 31
	v_dual_mov_b32 v6, v13 :: v_dual_mov_b32 v15, v0
	s_lshl_b64 s[28:29], s[26:27], 2
	s_cmp_gt_i32 s38, 0
	s_add_nc_u64 s[28:29], s[24:25], s[28:29]
	s_cselect_b32 s27, -1, 0
	s_mov_b32 s38, 0
	s_branch .LBB14_28
.LBB14_26:                              ;   in Loop: Header=BB14_28 Depth=2
	v_mov_b32_e32 v7, 0
.LBB14_27:                              ;   in Loop: Header=BB14_28 Depth=2
	v_dual_lshlrev_b32 v8, 2, v15 :: v_dual_add_nc_u32 v15, s3, v15
	s_delay_alu instid0(VALU_DEP_1) | instskip(NEXT) | instid1(VALU_DEP_2)
	v_dual_add_nc_u32 v6, s35, v6 :: v_dual_add_nc_u32 v9, s37, v8
	v_cmp_le_u32_e32 vcc_lo, s33, v15
	ds_load_b32 v9, v9
	s_or_b32 s38, vcc_lo, s38
	s_wait_dscnt 0x0
	s_wait_kmcnt 0x0
	v_dual_fmac_f32 v9, s19, v7 :: v_dual_add_nc_u32 v7, 0, v8
	ds_store_b32 v7, v9
	s_and_not1_b32 exec_lo, exec_lo, s38
	s_cbranch_execz .LBB14_31
.LBB14_28:                              ;   Parent Loop BB14_15 Depth=1
                                        ; =>  This Loop Header: Depth=2
                                        ;       Child Loop BB14_30 Depth 3
	s_and_not1_b32 vcc_lo, exec_lo, s27
	s_cbranch_vccnz .LBB14_26
; %bb.29:                               ;   in Loop: Header=BB14_28 Depth=2
	v_ashrrev_i32_e32 v7, 31, v6
	s_mov_b32 s39, 0
	s_mov_b64 s[30:31], s[28:29]
	s_delay_alu instid0(VALU_DEP_1)
	v_lshl_add_u64 v[8:9], v[6:7], 2, s[24:25]
	v_mov_b32_e32 v7, 0
.LBB14_30:                              ;   Parent Loop BB14_15 Depth=1
                                        ;     Parent Loop BB14_28 Depth=2
                                        ; =>    This Inner Loop Header: Depth=3
	flat_load_b32 v16, v[8:9]
	flat_load_b32 v17, v3, s[30:31]
	s_wait_xcnt 0x1
	v_add_nc_u64_e32 v[8:9], 4, v[8:9]
	s_add_co_i32 s39, s39, 1
	s_wait_xcnt 0x0
	s_add_nc_u64 s[30:31], s[30:31], 4
	s_cmp_eq_u32 s34, s39
	s_wait_loadcnt_dscnt 0x0
	v_fmac_f32_e32 v7, v16, v17
	s_cbranch_scc0 .LBB14_30
	s_branch .LBB14_27
.LBB14_31:                              ;   in Loop: Header=BB14_15 Depth=1
	s_or_b32 exec_lo, exec_lo, s0
.LBB14_32:                              ;   in Loop: Header=BB14_15 Depth=1
	s_delay_alu instid0(SALU_CYCLE_1)
	s_mov_b32 s0, exec_lo
	s_wait_dscnt 0x0
	s_barrier_signal -1
	s_barrier_wait -1
	v_cmpx_gt_u32_e64 s33, v0
	s_cbranch_execz .LBB14_14
; %bb.33:                               ;   in Loop: Header=BB14_15 Depth=1
	v_dual_mov_b32 v6, v14 :: v_dual_mov_b32 v7, v12
	v_mov_b32_e32 v8, v0
	s_mov_b32 s19, 0
.LBB14_34:                              ;   Parent Loop BB14_15 Depth=1
                                        ; =>  This Loop Header: Depth=2
                                        ;       Child Loop BB14_35 Depth 3
	s_delay_alu instid0(VALU_DEP_2) | instskip(NEXT) | instid1(VALU_DEP_2)
	v_dual_mov_b32 v9, 0 :: v_dual_mov_b32 v15, v6
	v_dual_mov_b32 v16, v7 :: v_dual_mov_b32 v17, v8
	s_mov_b32 s27, 0
.LBB14_35:                              ;   Parent Loop BB14_15 Depth=1
                                        ;     Parent Loop BB14_34 Depth=2
                                        ; =>    This Inner Loop Header: Depth=3
	ds_load_b32 v18, v16
	ds_load_b32 v19, v15
	v_dual_add_nc_u32 v17, 1, v17 :: v_dual_add_nc_u32 v16, s11, v16
	v_add_nc_u32_e32 v15, 4, v15
	s_delay_alu instid0(VALU_DEP_2)
	v_cmp_le_u32_e32 vcc_lo, s33, v17
	s_or_b32 s27, vcc_lo, s27
	s_wait_dscnt 0x0
	v_fmac_f32_e32 v9, v18, v19
	s_and_not1_b32 exec_lo, exec_lo, s27
	s_cbranch_execnz .LBB14_35
; %bb.36:                               ;   in Loop: Header=BB14_34 Depth=2
	s_or_b32 exec_lo, exec_lo, s27
	v_lshl_add_u32 v15, v8, 2, s37
	v_dual_add_nc_u32 v8, s3, v8 :: v_dual_add_nc_u32 v7, s36, v7
	v_add_nc_u32_e32 v6, s6, v6
	ds_store_b32 v15, v9
	v_cmp_le_u32_e32 vcc_lo, s33, v8
	s_or_b32 s19, vcc_lo, s19
	s_delay_alu instid0(SALU_CYCLE_1)
	s_and_not1_b32 exec_lo, exec_lo, s19
	s_cbranch_execnz .LBB14_34
	s_branch .LBB14_14
.LBB14_37:
	s_and_saveexec_b32 s0, s2
	s_cbranch_execz .LBB14_49
; %bb.38:
	s_lshl_b32 s0, s3, 1
	s_cmp_lg_u32 s14, 1
	v_add3_u32 v8, 0, s11, v2
	v_dual_mov_b32 v9, v10 :: v_dual_mov_b32 v2, v0
	s_wait_kmcnt 0x0
	s_cselect_b32 s6, -1, 0
	s_mov_b32 s1, s10
	s_mov_b32 s2, s10
	;; [unrolled: 1-line block ×3, first 2 shown]
	s_lshl_b32 s5, s3, 2
	s_xor_b32 s6, s6, -1
	s_mov_b32 s7, 0
	s_branch .LBB14_40
.LBB14_39:                              ;   in Loop: Header=BB14_40 Depth=1
	s_or_b32 exec_lo, exec_lo, s9
	v_dual_add_nc_u32 v2, s3, v2 :: v_dual_add_nc_u32 v9, s0, v9
	v_subrev_nc_u32_e32 v11, s3, v11
	v_add_nc_u32_e32 v8, s5, v8
	s_add_co_i32 s7, s7, 1
	s_delay_alu instid0(VALU_DEP_3) | instskip(SKIP_1) | instid1(SALU_CYCLE_1)
	v_cmp_le_i32_e32 vcc_lo, s10, v2
	s_or_b32 s4, vcc_lo, s4
	s_and_not1_b32 exec_lo, exec_lo, s4
	s_cbranch_execz .LBB14_49
.LBB14_40:                              ; =>This Loop Header: Depth=1
                                        ;     Child Loop BB14_43 Depth 2
                                        ;     Child Loop BB14_48 Depth 2
	s_mul_i32 s16, s7, s3
	s_mov_b32 s9, exec_lo
	v_add_nc_u32_e32 v3, s16, v0
	s_delay_alu instid0(VALU_DEP_1) | instskip(NEXT) | instid1(VALU_DEP_1)
	v_dual_mov_b32 v3, v2 :: v_dual_sub_nc_u32 v12, s10, v3
	v_cmp_gt_u32_e64 s8, 4, v12
	v_cmpx_lt_u32_e32 3, v12
	s_cbranch_execz .LBB14_46
; %bb.41:                               ;   in Loop: Header=BB14_40 Depth=1
	v_mad_u32 v3, s0, s7, v10
	v_subrev_nc_u32_e32 v4, s16, v1
	s_mov_b32 s17, -1
	s_delay_alu instid0(VALU_DEP_1) | instskip(NEXT) | instid1(VALU_DEP_1)
	v_add_nc_u32_e32 v4, v3, v4
	v_cmp_ge_i32_e32 vcc_lo, v4, v3
	v_mov_b32_e32 v3, v2
	s_and_b32 s18, s6, vcc_lo
	s_delay_alu instid0(SALU_CYCLE_1)
	s_and_saveexec_b32 s16, s18
	s_cbranch_execz .LBB14_45
; %bb.42:                               ;   in Loop: Header=BB14_40 Depth=1
	v_dual_add_nc_u32 v3, 1, v2 :: v_dual_bitop2_b32 v13, -2, v11 bitop3:0x40
	v_lshl_add_u32 v14, v2, 2, s15
	v_mov_b32_e32 v4, v9
	s_mov_b32 s17, 0
	s_delay_alu instid0(VALU_DEP_3)
	v_mov_b64_e32 v[6:7], v[2:3]
.LBB14_43:                              ;   Parent Loop BB14_40 Depth=1
                                        ; =>  This Inner Loop Header: Depth=2
	s_delay_alu instid0(VALU_DEP_1) | instskip(NEXT) | instid1(VALU_DEP_2)
	v_mul_lo_u32 v3, v6, s1
	v_mul_lo_u32 v5, v7, s2
	v_dual_add_nc_u32 v13, -2, v13 :: v_dual_add_nc_u32 v7, 2, v7
	v_add_nc_u32_e32 v6, 2, v6
	s_delay_alu instid0(VALU_DEP_4) | instskip(NEXT) | instid1(VALU_DEP_4)
	v_lshl_add_u32 v3, v3, 2, v14
	v_lshl_add_u32 v5, v5, 2, v14
	ds_load_b32 v16, v3
	ds_load_b32 v17, v5
	v_ashrrev_i32_e32 v5, 31, v4
	v_cmp_eq_u32_e32 vcc_lo, 0, v13
	s_delay_alu instid0(VALU_DEP_2)
	v_lshl_add_u64 v[18:19], v[4:5], 2, s[12:13]
	v_add_nc_u32_e32 v4, 2, v4
	s_or_b32 s17, vcc_lo, s17
	s_wait_dscnt 0x0
	global_store_b64 v[18:19], v[16:17], off
	s_wait_xcnt 0x0
	s_and_not1_b32 exec_lo, exec_lo, s17
	s_cbranch_execnz .LBB14_43
; %bb.44:                               ;   in Loop: Header=BB14_40 Depth=1
	s_or_b32 exec_lo, exec_lo, s17
	v_and_b32_e32 v3, -2, v12
	s_delay_alu instid0(VALU_DEP_1)
	v_cmp_ne_u32_e32 vcc_lo, v12, v3
	v_add_nc_u32_e32 v3, v2, v3
	s_or_not1_b32 s17, vcc_lo, exec_lo
.LBB14_45:                              ;   in Loop: Header=BB14_40 Depth=1
	s_or_b32 exec_lo, exec_lo, s16
	s_delay_alu instid0(SALU_CYCLE_1) | instskip(SKIP_1) | instid1(SALU_CYCLE_1)
	s_and_not1_b32 s8, s8, exec_lo
	s_and_b32 s16, s17, exec_lo
	s_or_b32 s8, s8, s16
.LBB14_46:                              ;   in Loop: Header=BB14_40 Depth=1
	s_or_b32 exec_lo, exec_lo, s9
	s_and_saveexec_b32 s9, s8
	s_cbranch_execz .LBB14_39
; %bb.47:                               ;   in Loop: Header=BB14_40 Depth=1
	v_mad_u32 v4, s14, v3, v2
	v_mad_u32 v5, s11, v3, v8
	s_mov_b32 s8, 0
.LBB14_48:                              ;   Parent Loop BB14_40 Depth=1
                                        ; =>  This Inner Loop Header: Depth=2
	ds_load_b32 v6, v5
	v_dual_add_nc_u32 v3, 1, v3 :: v_dual_add_nc_u32 v5, s11, v5
	s_delay_alu instid0(VALU_DEP_1)
	v_cmp_le_i32_e32 vcc_lo, s10, v3
	s_or_b32 s8, vcc_lo, s8
	s_wait_dscnt 0x0
	global_store_b32 v4, v6, s[12:13] scale_offset
	s_wait_xcnt 0x0
	v_add_nc_u32_e32 v4, s14, v4
	s_and_not1_b32 exec_lo, exec_lo, s8
	s_cbranch_execnz .LBB14_48
	s_branch .LBB14_39
.LBB14_49:
	s_endpgm
	.section	.rodata,"a",@progbits
	.p2align	6, 0x0
	.amdhsa_kernel _ZN9rocsolver6v33100L20larft_kernel_forwardIfPKPfEEv15rocblas_storev_iiT0_iilPT_lS8_il
		.amdhsa_group_segment_fixed_size 0
		.amdhsa_private_segment_fixed_size 0
		.amdhsa_kernarg_size 336
		.amdhsa_user_sgpr_count 2
		.amdhsa_user_sgpr_dispatch_ptr 0
		.amdhsa_user_sgpr_queue_ptr 0
		.amdhsa_user_sgpr_kernarg_segment_ptr 1
		.amdhsa_user_sgpr_dispatch_id 0
		.amdhsa_user_sgpr_kernarg_preload_length 0
		.amdhsa_user_sgpr_kernarg_preload_offset 0
		.amdhsa_user_sgpr_private_segment_size 0
		.amdhsa_wavefront_size32 1
		.amdhsa_uses_dynamic_stack 0
		.amdhsa_enable_private_segment 0
		.amdhsa_system_sgpr_workgroup_id_x 1
		.amdhsa_system_sgpr_workgroup_id_y 1
		.amdhsa_system_sgpr_workgroup_id_z 0
		.amdhsa_system_sgpr_workgroup_info 0
		.amdhsa_system_vgpr_workitem_id 0
		.amdhsa_next_free_vgpr 20
		.amdhsa_next_free_sgpr 44
		.amdhsa_named_barrier_count 0
		.amdhsa_reserve_vcc 1
		.amdhsa_float_round_mode_32 0
		.amdhsa_float_round_mode_16_64 0
		.amdhsa_float_denorm_mode_32 3
		.amdhsa_float_denorm_mode_16_64 3
		.amdhsa_fp16_overflow 0
		.amdhsa_memory_ordered 1
		.amdhsa_forward_progress 1
		.amdhsa_inst_pref_size 18
		.amdhsa_round_robin_scheduling 0
		.amdhsa_exception_fp_ieee_invalid_op 0
		.amdhsa_exception_fp_denorm_src 0
		.amdhsa_exception_fp_ieee_div_zero 0
		.amdhsa_exception_fp_ieee_overflow 0
		.amdhsa_exception_fp_ieee_underflow 0
		.amdhsa_exception_fp_ieee_inexact 0
		.amdhsa_exception_int_div_zero 0
	.end_amdhsa_kernel
	.section	.text._ZN9rocsolver6v33100L20larft_kernel_forwardIfPKPfEEv15rocblas_storev_iiT0_iilPT_lS8_il,"axG",@progbits,_ZN9rocsolver6v33100L20larft_kernel_forwardIfPKPfEEv15rocblas_storev_iiT0_iilPT_lS8_il,comdat
.Lfunc_end14:
	.size	_ZN9rocsolver6v33100L20larft_kernel_forwardIfPKPfEEv15rocblas_storev_iiT0_iilPT_lS8_il, .Lfunc_end14-_ZN9rocsolver6v33100L20larft_kernel_forwardIfPKPfEEv15rocblas_storev_iiT0_iilPT_lS8_il
                                        ; -- End function
	.set _ZN9rocsolver6v33100L20larft_kernel_forwardIfPKPfEEv15rocblas_storev_iiT0_iilPT_lS8_il.num_vgpr, 20
	.set _ZN9rocsolver6v33100L20larft_kernel_forwardIfPKPfEEv15rocblas_storev_iiT0_iilPT_lS8_il.num_agpr, 0
	.set _ZN9rocsolver6v33100L20larft_kernel_forwardIfPKPfEEv15rocblas_storev_iiT0_iilPT_lS8_il.numbered_sgpr, 44
	.set _ZN9rocsolver6v33100L20larft_kernel_forwardIfPKPfEEv15rocblas_storev_iiT0_iilPT_lS8_il.num_named_barrier, 0
	.set _ZN9rocsolver6v33100L20larft_kernel_forwardIfPKPfEEv15rocblas_storev_iiT0_iilPT_lS8_il.private_seg_size, 0
	.set _ZN9rocsolver6v33100L20larft_kernel_forwardIfPKPfEEv15rocblas_storev_iiT0_iilPT_lS8_il.uses_vcc, 1
	.set _ZN9rocsolver6v33100L20larft_kernel_forwardIfPKPfEEv15rocblas_storev_iiT0_iilPT_lS8_il.uses_flat_scratch, 1
	.set _ZN9rocsolver6v33100L20larft_kernel_forwardIfPKPfEEv15rocblas_storev_iiT0_iilPT_lS8_il.has_dyn_sized_stack, 0
	.set _ZN9rocsolver6v33100L20larft_kernel_forwardIfPKPfEEv15rocblas_storev_iiT0_iilPT_lS8_il.has_recursion, 0
	.set _ZN9rocsolver6v33100L20larft_kernel_forwardIfPKPfEEv15rocblas_storev_iiT0_iilPT_lS8_il.has_indirect_call, 0
	.section	.AMDGPU.csdata,"",@progbits
; Kernel info:
; codeLenInByte = 2184
; TotalNumSgprs: 46
; NumVgprs: 20
; ScratchSize: 0
; MemoryBound: 0
; FloatMode: 240
; IeeeMode: 1
; LDSByteSize: 0 bytes/workgroup (compile time only)
; SGPRBlocks: 0
; VGPRBlocks: 1
; NumSGPRsForWavesPerEU: 46
; NumVGPRsForWavesPerEU: 20
; NamedBarCnt: 0
; Occupancy: 16
; WaveLimiterHint : 0
; COMPUTE_PGM_RSRC2:SCRATCH_EN: 0
; COMPUTE_PGM_RSRC2:USER_SGPR: 2
; COMPUTE_PGM_RSRC2:TRAP_HANDLER: 0
; COMPUTE_PGM_RSRC2:TGID_X_EN: 1
; COMPUTE_PGM_RSRC2:TGID_Y_EN: 1
; COMPUTE_PGM_RSRC2:TGID_Z_EN: 0
; COMPUTE_PGM_RSRC2:TIDIG_COMP_CNT: 0
	.section	.text._ZN9rocsolver6v33100L13conj_in_placeIfiPKPfTnNSt9enable_ifIXnt18rocblas_is_complexIT_EEiE4typeELi0EEEvT0_S9_T1_lS9_l,"axG",@progbits,_ZN9rocsolver6v33100L13conj_in_placeIfiPKPfTnNSt9enable_ifIXnt18rocblas_is_complexIT_EEiE4typeELi0EEEvT0_S9_T1_lS9_l,comdat
	.globl	_ZN9rocsolver6v33100L13conj_in_placeIfiPKPfTnNSt9enable_ifIXnt18rocblas_is_complexIT_EEiE4typeELi0EEEvT0_S9_T1_lS9_l ; -- Begin function _ZN9rocsolver6v33100L13conj_in_placeIfiPKPfTnNSt9enable_ifIXnt18rocblas_is_complexIT_EEiE4typeELi0EEEvT0_S9_T1_lS9_l
	.p2align	8
	.type	_ZN9rocsolver6v33100L13conj_in_placeIfiPKPfTnNSt9enable_ifIXnt18rocblas_is_complexIT_EEiE4typeELi0EEEvT0_S9_T1_lS9_l,@function
_ZN9rocsolver6v33100L13conj_in_placeIfiPKPfTnNSt9enable_ifIXnt18rocblas_is_complexIT_EEiE4typeELi0EEEvT0_S9_T1_lS9_l: ; @_ZN9rocsolver6v33100L13conj_in_placeIfiPKPfTnNSt9enable_ifIXnt18rocblas_is_complexIT_EEiE4typeELi0EEEvT0_S9_T1_lS9_l
; %bb.0:
	s_endpgm
	.section	.rodata,"a",@progbits
	.p2align	6, 0x0
	.amdhsa_kernel _ZN9rocsolver6v33100L13conj_in_placeIfiPKPfTnNSt9enable_ifIXnt18rocblas_is_complexIT_EEiE4typeELi0EEEvT0_S9_T1_lS9_l
		.amdhsa_group_segment_fixed_size 0
		.amdhsa_private_segment_fixed_size 0
		.amdhsa_kernarg_size 40
		.amdhsa_user_sgpr_count 2
		.amdhsa_user_sgpr_dispatch_ptr 0
		.amdhsa_user_sgpr_queue_ptr 0
		.amdhsa_user_sgpr_kernarg_segment_ptr 1
		.amdhsa_user_sgpr_dispatch_id 0
		.amdhsa_user_sgpr_kernarg_preload_length 0
		.amdhsa_user_sgpr_kernarg_preload_offset 0
		.amdhsa_user_sgpr_private_segment_size 0
		.amdhsa_wavefront_size32 1
		.amdhsa_uses_dynamic_stack 0
		.amdhsa_enable_private_segment 0
		.amdhsa_system_sgpr_workgroup_id_x 1
		.amdhsa_system_sgpr_workgroup_id_y 0
		.amdhsa_system_sgpr_workgroup_id_z 0
		.amdhsa_system_sgpr_workgroup_info 0
		.amdhsa_system_vgpr_workitem_id 0
		.amdhsa_next_free_vgpr 1
		.amdhsa_next_free_sgpr 1
		.amdhsa_named_barrier_count 0
		.amdhsa_reserve_vcc 0
		.amdhsa_float_round_mode_32 0
		.amdhsa_float_round_mode_16_64 0
		.amdhsa_float_denorm_mode_32 3
		.amdhsa_float_denorm_mode_16_64 3
		.amdhsa_fp16_overflow 0
		.amdhsa_memory_ordered 1
		.amdhsa_forward_progress 1
		.amdhsa_inst_pref_size 1
		.amdhsa_round_robin_scheduling 0
		.amdhsa_exception_fp_ieee_invalid_op 0
		.amdhsa_exception_fp_denorm_src 0
		.amdhsa_exception_fp_ieee_div_zero 0
		.amdhsa_exception_fp_ieee_overflow 0
		.amdhsa_exception_fp_ieee_underflow 0
		.amdhsa_exception_fp_ieee_inexact 0
		.amdhsa_exception_int_div_zero 0
	.end_amdhsa_kernel
	.section	.text._ZN9rocsolver6v33100L13conj_in_placeIfiPKPfTnNSt9enable_ifIXnt18rocblas_is_complexIT_EEiE4typeELi0EEEvT0_S9_T1_lS9_l,"axG",@progbits,_ZN9rocsolver6v33100L13conj_in_placeIfiPKPfTnNSt9enable_ifIXnt18rocblas_is_complexIT_EEiE4typeELi0EEEvT0_S9_T1_lS9_l,comdat
.Lfunc_end15:
	.size	_ZN9rocsolver6v33100L13conj_in_placeIfiPKPfTnNSt9enable_ifIXnt18rocblas_is_complexIT_EEiE4typeELi0EEEvT0_S9_T1_lS9_l, .Lfunc_end15-_ZN9rocsolver6v33100L13conj_in_placeIfiPKPfTnNSt9enable_ifIXnt18rocblas_is_complexIT_EEiE4typeELi0EEEvT0_S9_T1_lS9_l
                                        ; -- End function
	.set _ZN9rocsolver6v33100L13conj_in_placeIfiPKPfTnNSt9enable_ifIXnt18rocblas_is_complexIT_EEiE4typeELi0EEEvT0_S9_T1_lS9_l.num_vgpr, 0
	.set _ZN9rocsolver6v33100L13conj_in_placeIfiPKPfTnNSt9enable_ifIXnt18rocblas_is_complexIT_EEiE4typeELi0EEEvT0_S9_T1_lS9_l.num_agpr, 0
	.set _ZN9rocsolver6v33100L13conj_in_placeIfiPKPfTnNSt9enable_ifIXnt18rocblas_is_complexIT_EEiE4typeELi0EEEvT0_S9_T1_lS9_l.numbered_sgpr, 0
	.set _ZN9rocsolver6v33100L13conj_in_placeIfiPKPfTnNSt9enable_ifIXnt18rocblas_is_complexIT_EEiE4typeELi0EEEvT0_S9_T1_lS9_l.num_named_barrier, 0
	.set _ZN9rocsolver6v33100L13conj_in_placeIfiPKPfTnNSt9enable_ifIXnt18rocblas_is_complexIT_EEiE4typeELi0EEEvT0_S9_T1_lS9_l.private_seg_size, 0
	.set _ZN9rocsolver6v33100L13conj_in_placeIfiPKPfTnNSt9enable_ifIXnt18rocblas_is_complexIT_EEiE4typeELi0EEEvT0_S9_T1_lS9_l.uses_vcc, 0
	.set _ZN9rocsolver6v33100L13conj_in_placeIfiPKPfTnNSt9enable_ifIXnt18rocblas_is_complexIT_EEiE4typeELi0EEEvT0_S9_T1_lS9_l.uses_flat_scratch, 0
	.set _ZN9rocsolver6v33100L13conj_in_placeIfiPKPfTnNSt9enable_ifIXnt18rocblas_is_complexIT_EEiE4typeELi0EEEvT0_S9_T1_lS9_l.has_dyn_sized_stack, 0
	.set _ZN9rocsolver6v33100L13conj_in_placeIfiPKPfTnNSt9enable_ifIXnt18rocblas_is_complexIT_EEiE4typeELi0EEEvT0_S9_T1_lS9_l.has_recursion, 0
	.set _ZN9rocsolver6v33100L13conj_in_placeIfiPKPfTnNSt9enable_ifIXnt18rocblas_is_complexIT_EEiE4typeELi0EEEvT0_S9_T1_lS9_l.has_indirect_call, 0
	.section	.AMDGPU.csdata,"",@progbits
; Kernel info:
; codeLenInByte = 4
; TotalNumSgprs: 0
; NumVgprs: 0
; ScratchSize: 0
; MemoryBound: 0
; FloatMode: 240
; IeeeMode: 1
; LDSByteSize: 0 bytes/workgroup (compile time only)
; SGPRBlocks: 0
; VGPRBlocks: 0
; NumSGPRsForWavesPerEU: 1
; NumVGPRsForWavesPerEU: 1
; NamedBarCnt: 0
; Occupancy: 16
; WaveLimiterHint : 0
; COMPUTE_PGM_RSRC2:SCRATCH_EN: 0
; COMPUTE_PGM_RSRC2:USER_SGPR: 2
; COMPUTE_PGM_RSRC2:TRAP_HANDLER: 0
; COMPUTE_PGM_RSRC2:TGID_X_EN: 1
; COMPUTE_PGM_RSRC2:TGID_Y_EN: 0
; COMPUTE_PGM_RSRC2:TGID_Z_EN: 0
; COMPUTE_PGM_RSRC2:TIDIG_COMP_CNT: 0
	.section	.text._ZN9rocsolver6v33100L21larft_kernel_backwardIfPKPfEEv15rocblas_storev_iiT0_iilPT_lS8_il,"axG",@progbits,_ZN9rocsolver6v33100L21larft_kernel_backwardIfPKPfEEv15rocblas_storev_iiT0_iilPT_lS8_il,comdat
	.globl	_ZN9rocsolver6v33100L21larft_kernel_backwardIfPKPfEEv15rocblas_storev_iiT0_iilPT_lS8_il ; -- Begin function _ZN9rocsolver6v33100L21larft_kernel_backwardIfPKPfEEv15rocblas_storev_iiT0_iilPT_lS8_il
	.p2align	8
	.type	_ZN9rocsolver6v33100L21larft_kernel_backwardIfPKPfEEv15rocblas_storev_iiT0_iilPT_lS8_il,@function
_ZN9rocsolver6v33100L21larft_kernel_backwardIfPKPfEEv15rocblas_storev_iiT0_iilPT_lS8_il: ; @_ZN9rocsolver6v33100L21larft_kernel_backwardIfPKPfEEv15rocblas_storev_iiT0_iilPT_lS8_il
; %bb.0:
	s_clause 0x1
	s_load_b32 s2, s[0:1], 0x5c
	s_load_b64 s[4:5], s[0:1], 0x10
	s_bfe_u32 s3, ttmp6, 0x40010
	s_bfe_u32 s6, ttmp6, 0x40004
	s_add_co_i32 s3, s3, 1
	s_getreg_b32 s7, hwreg(HW_REG_IB_STS2, 6, 4)
	s_mul_i32 s3, ttmp7, s3
	s_clause 0x1
	s_load_b64 s[18:19], s[0:1], 0x48
	s_load_b96 s[8:10], s[0:1], 0x0
	s_add_co_i32 s6, s6, s3
	v_dual_add_nc_u32 v1, 1, v0 :: v_dual_lshlrev_b32 v2, 2, v0
	s_mov_b32 s11, 0
	s_wait_kmcnt 0x0
	s_and_b32 s3, s2, 0xffff
	s_cmp_eq_u32 s7, 0
	s_cselect_b32 s16, ttmp7, s6
	s_delay_alu instid0(SALU_CYCLE_1) | instskip(NEXT) | instid1(SALU_CYCLE_1)
	s_ashr_i32 s17, s16, 31
	s_lshl_b64 s[6:7], s[16:17], 3
	s_mul_u64 s[18:19], s[18:19], s[16:17]
	s_add_nc_u64 s[22:23], s[4:5], s[6:7]
	s_clause 0x1
	s_load_b96 s[12:14], s[0:1], 0x38
	s_load_b128 s[4:7], s[0:1], 0x28
	s_load_b64 s[20:21], s[22:23], 0x0
	v_cmp_gt_i32_e64 s2, s10, v0
	s_lshl_b64 s[18:19], s[18:19], 2
	s_wait_kmcnt 0x0
	s_add_nc_u64 s[12:13], s[12:13], s[18:19]
	s_and_saveexec_b32 s15, s2
	s_cbranch_execz .LBB16_12
; %bb.1:
	s_cmp_lg_u32 s14, 1
	v_dual_add_nc_u32 v3, 1, v0 :: v_dual_mov_b32 v5, v0
	s_cselect_b32 s19, -1, 0
	s_cmp_lg_u32 s10, 1
	s_cselect_b32 s22, -1, 0
	s_lshl_b32 s18, s10, 2
	s_or_b32 s22, s19, s22
	v_add3_u32 v4, 0, s18, v2
	s_lshl_b32 s19, s3, 2
	s_xor_b32 s22, s22, -1
	s_branch .LBB16_3
.LBB16_2:                               ;   in Loop: Header=BB16_3 Depth=1
	s_or_b32 exec_lo, exec_lo, s24
	v_dual_add_nc_u32 v5, s3, v5 :: v_dual_add_nc_u32 v3, s3, v3
	v_add_nc_u32_e32 v4, s19, v4
	s_delay_alu instid0(VALU_DEP_2) | instskip(SKIP_1) | instid1(SALU_CYCLE_1)
	v_cmp_le_i32_e32 vcc_lo, s10, v5
	s_or_b32 s11, vcc_lo, s11
	s_and_not1_b32 exec_lo, exec_lo, s11
	s_cbranch_execz .LBB16_12
.LBB16_3:                               ; =>This Loop Header: Depth=1
                                        ;     Child Loop BB16_6 Depth 2
                                        ;     Child Loop BB16_11 Depth 2
	v_cmp_gt_u32_e64 s23, 6, v3
	v_mov_b32_e32 v6, 0
	s_mov_b32 s24, exec_lo
	v_cmpx_lt_u32_e32 5, v3
	s_cbranch_execz .LBB16_9
; %bb.4:                                ;   in Loop: Header=BB16_3 Depth=1
	v_lshlrev_b32_e32 v6, 1, v5
	s_mov_b32 s26, -1
	s_delay_alu instid0(VALU_DEP_1) | instskip(SKIP_2) | instid1(SALU_CYCLE_1)
	v_cmp_ge_i32_e32 vcc_lo, v6, v5
	v_mov_b32_e32 v6, 0
	s_and_b32 s27, vcc_lo, s22
	s_and_saveexec_b32 s25, s27
	s_cbranch_execz .LBB16_8
; %bb.5:                                ;   in Loop: Header=BB16_3 Depth=1
	v_dual_mov_b32 v7, v4 :: v_dual_bitop2_b32 v6, -4, v3 bitop3:0x40
	s_mov_b32 s26, 0
	s_mov_b32 s27, 0
.LBB16_6:                               ;   Parent Loop BB16_3 Depth=1
                                        ; =>  This Inner Loop Header: Depth=2
	s_delay_alu instid0(SALU_CYCLE_1) | instskip(SKIP_1) | instid1(SALU_CYCLE_1)
	v_add_nc_u32_e32 v8, s27, v5
	s_add_co_i32 s27, s27, 4
	v_cmp_eq_u32_e32 vcc_lo, s27, v6
	s_delay_alu instid0(VALU_DEP_2) | instskip(SKIP_1) | instid1(VALU_DEP_1)
	v_ashrrev_i32_e32 v9, 31, v8
	s_or_b32 s26, vcc_lo, s26
	v_lshl_add_u64 v[8:9], v[8:9], 2, s[12:13]
	global_load_b128 v[8:11], v[8:9], off
	s_wait_loadcnt 0x0
	ds_store_2addr_b32 v7, v8, v9 offset1:1
	ds_store_2addr_b32 v7, v10, v11 offset0:2 offset1:3
	v_add_nc_u32_e32 v7, 16, v7
	s_wait_xcnt 0x0
	s_and_not1_b32 exec_lo, exec_lo, s26
	s_cbranch_execnz .LBB16_6
; %bb.7:                                ;   in Loop: Header=BB16_3 Depth=1
	s_or_b32 exec_lo, exec_lo, s26
	v_cmp_ne_u32_e32 vcc_lo, v3, v6
	s_or_not1_b32 s26, vcc_lo, exec_lo
.LBB16_8:                               ;   in Loop: Header=BB16_3 Depth=1
	s_or_b32 exec_lo, exec_lo, s25
	s_delay_alu instid0(SALU_CYCLE_1) | instskip(SKIP_1) | instid1(SALU_CYCLE_1)
	s_and_not1_b32 s23, s23, exec_lo
	s_and_b32 s25, s26, exec_lo
	s_or_b32 s23, s23, s25
.LBB16_9:                               ;   in Loop: Header=BB16_3 Depth=1
	s_or_b32 exec_lo, exec_lo, s24
	s_and_saveexec_b32 s24, s23
	s_cbranch_execz .LBB16_2
; %bb.10:                               ;   in Loop: Header=BB16_3 Depth=1
	v_mul_lo_u32 v7, s18, v6
	v_mad_u32 v8, s14, v6, v5
	s_mov_b32 s23, 0
.LBB16_11:                              ;   Parent Loop BB16_3 Depth=1
                                        ; =>  This Inner Loop Header: Depth=2
	global_load_b32 v9, v8, s[12:13] scale_offset
	v_dual_add_nc_u32 v6, 1, v6 :: v_dual_add_nc_u32 v10, v4, v7
	s_wait_xcnt 0x0
	v_dual_add_nc_u32 v7, s18, v7 :: v_dual_add_nc_u32 v8, s14, v8
	s_delay_alu instid0(VALU_DEP_2)
	v_cmp_eq_u32_e32 vcc_lo, v3, v6
	s_or_b32 s23, vcc_lo, s23
	s_wait_loadcnt 0x0
	ds_store_b32 v10, v9
	s_and_not1_b32 exec_lo, exec_lo, s23
	s_cbranch_execnz .LBB16_11
	s_branch .LBB16_2
.LBB16_12:
	s_or_b32 exec_lo, exec_lo, s15
	s_cmp_lt_i32 s10, 2
	s_wait_dscnt 0x0
	s_barrier_signal -1
	s_barrier_wait -1
	s_cbranch_scc1 .LBB16_37
; %bb.13:
	s_load_b64 s[0:1], s[0:1], 0x18
	s_mul_u64 s[16:17], s[6:7], s[16:17]
	s_lshl_b32 s11, s10, 2
	s_lshl_b64 s[18:19], s[16:17], 2
	s_add_co_i32 s6, s10, -2
	s_sub_co_i32 s15, s9, s10
	s_add_co_i32 s33, s11, 0
	s_add_nc_u64 s[4:5], s[4:5], s[18:19]
	s_mov_b32 s7, 0
	v_mov_b32_e32 v3, 0
	s_mov_b32 s17, s7
	s_wait_kmcnt 0x0
	s_ashr_i32 s19, s0, 31
	s_cmp_lg_u32 s8, 0xb5
	s_mov_b32 s18, s0
	s_cselect_b32 s34, -1, 0
	s_add_co_i32 s35, s9, -2
	s_lshl_b64 s[8:9], s[6:7], 2
	s_lshl_b64 s[18:19], s[18:19], 2
	s_add_nc_u64 s[24:25], s[20:21], s[8:9]
	v_mul_lo_u32 v10, v0, s1
	s_add_nc_u64 s[24:25], s[24:25], s[18:19]
	s_add_co_i32 s7, s11, 4
	v_add_nc_u64_e32 v[4:5], s[24:25], v[2:3]
	s_mul_i32 s7, s10, s7
	s_mov_b32 s22, s1
	s_add_co_i32 s7, s7, 0
	s_ashr_i32 s23, s1, 31
	v_add3_u32 v11, s7, v2, -4
	s_add_co_i32 s0, s10, -1
	v_add_nc_u64_e32 v[4:5], 4, v[4:5]
	s_add_nc_u64 s[24:25], s[18:19], s[8:9]
	s_lshl_b32 s16, s3, 2
	s_lshl_b64 s[8:9], s[22:23], 2
	s_add_nc_u64 s[18:19], s[20:21], s[18:19]
	s_add_nc_u64 s[20:21], s[20:21], s[24:25]
	s_mul_i32 s22, s1, s0
	s_mul_i32 s7, s1, s3
	;; [unrolled: 1-line block ×3, first 2 shown]
	s_xor_b32 s36, s11, -4
	s_branch .LBB16_15
.LBB16_14:                              ;   in Loop: Header=BB16_15 Depth=1
	s_or_b32 exec_lo, exec_lo, s0
	v_add_nc_u64_e32 v[4:5], -4, v[4:5]
	v_add_nc_u32_e32 v11, s36, v11
	s_add_co_i32 s0, s6, -1
	s_add_co_i32 s35, s35, -1
	s_sub_co_i32 s22, s22, s1
	s_sub_co_i32 s24, s24, s1
	s_add_nc_u64 s[20:21], s[20:21], -4
	s_cmp_lt_i32 s6, 1
	s_mov_b32 s6, s0
	s_wait_dscnt 0x0
	s_barrier_signal -1
	s_barrier_wait -1
	s_cbranch_scc1 .LBB16_37
.LBB16_15:                              ; =>This Loop Header: Depth=1
                                        ;     Child Loop BB16_19 Depth 2
                                        ;       Child Loop BB16_21 Depth 3
                                        ;     Child Loop BB16_28 Depth 2
                                        ;       Child Loop BB16_30 Depth 3
	;; [unrolled: 2-line block ×3, first 2 shown]
	s_not_b32 s0, s6
	s_lshl_b32 s23, s6, 2
	s_add_co_i32 s37, s10, s0
	s_mul_i32 s0, s6, s10
	s_add_co_i32 s38, s33, s23
	s_lshl_b32 s0, s0, 2
	s_add_co_i32 s28, s6, s15
	s_add_co_i32 s38, s38, s0
	v_cmp_gt_i32_e64 s0, s37, v0
	s_and_b32 vcc_lo, exec_lo, s34
	s_mov_b32 s23, -1
	s_cbranch_vccz .LBB16_23
; %bb.16:                               ;   in Loop: Header=BB16_15 Depth=1
	s_and_saveexec_b32 s23, s0
	s_cbranch_execz .LBB16_22
; %bb.17:                               ;   in Loop: Header=BB16_15 Depth=1
	s_load_b32 s0, s[4:5], s6 offset:0x0 scale_offset
	v_mov_b64_e32 v[6:7], v[4:5]
	v_mov_b32_e32 v8, v0
	s_cmp_gt_i32 s28, 0
	s_mov_b32 s29, 0
	s_cselect_b32 s25, -1, 0
	s_branch .LBB16_19
.LBB16_18:                              ;   in Loop: Header=BB16_19 Depth=2
	s_wait_xcnt 0x0
	v_dual_lshlrev_b32 v12, 2, v8 :: v_dual_add_nc_u32 v8, s3, v8
	v_add_nc_u64_e32 v[6:7], s[16:17], v[6:7]
	s_delay_alu instid0(VALU_DEP_2) | instskip(NEXT) | instid1(VALU_DEP_3)
	v_add_nc_u32_e32 v13, s38, v12
	v_cmp_le_i32_e32 vcc_lo, s37, v8
	ds_load_b32 v13, v13 offset:4
	s_or_b32 s29, vcc_lo, s29
	s_wait_dscnt 0x0
	s_wait_kmcnt 0x0
	v_dual_fmac_f32 v13, s0, v9 :: v_dual_add_nc_u32 v9, 0, v12
	ds_store_b32 v9, v13
	s_and_not1_b32 exec_lo, exec_lo, s29
	s_cbranch_execz .LBB16_22
.LBB16_19:                              ;   Parent Loop BB16_15 Depth=1
                                        ; =>  This Loop Header: Depth=2
                                        ;       Child Loop BB16_21 Depth 3
	v_mov_b32_e32 v9, 0
	s_and_not1_b32 vcc_lo, exec_lo, s25
	s_cbranch_vccnz .LBB16_18
; %bb.20:                               ;   in Loop: Header=BB16_19 Depth=2
	s_mov_b32 s30, 0
	s_mov_b64 s[26:27], 0
.LBB16_21:                              ;   Parent Loop BB16_15 Depth=1
                                        ;     Parent Loop BB16_19 Depth=2
                                        ; =>    This Inner Loop Header: Depth=3
	s_wait_xcnt 0x0
	v_add_nc_u64_e32 v[12:13], s[26:27], v[6:7]
	s_add_nc_u64 s[40:41], s[20:21], s[26:27]
	s_add_co_i32 s30, s30, 1
	s_add_nc_u64 s[26:27], s[26:27], s[8:9]
	s_cmp_eq_u32 s35, s30
	flat_load_b32 v14, v3, s[40:41]
	flat_load_b32 v15, v[12:13]
	s_wait_loadcnt_dscnt 0x0
	v_fmac_f32_e32 v9, v15, v14
	s_cbranch_scc0 .LBB16_21
	s_branch .LBB16_18
.LBB16_22:                              ;   in Loop: Header=BB16_15 Depth=1
	s_or_b32 exec_lo, exec_lo, s23
	s_mov_b32 s23, 0
.LBB16_23:                              ;   in Loop: Header=BB16_15 Depth=1
	s_delay_alu instid0(SALU_CYCLE_1)
	s_and_not1_b32 vcc_lo, exec_lo, s23
	s_cbranch_vccnz .LBB16_32
; %bb.24:                               ;   in Loop: Header=BB16_15 Depth=1
	s_mov_b32 s0, exec_lo
	v_cmpx_gt_i32_e64 s37, v0
	s_cbranch_execz .LBB16_31
; %bb.25:                               ;   in Loop: Header=BB16_15 Depth=1
	s_load_b32 s39, s[4:5], s6 offset:0x0 scale_offset
	s_ashr_i32 s23, s22, 31
	s_ashr_i32 s25, s24, 31
	s_lshl_b64 s[30:31], s[22:23], 2
	s_lshl_b64 s[26:27], s[24:25], 2
	v_dual_mov_b32 v6, v10 :: v_dual_mov_b32 v12, v0
	s_cmp_gt_i32 s28, 0
	s_add_nc_u64 s[26:27], s[18:19], s[26:27]
	s_cselect_b32 s23, -1, 0
	s_mov_b32 s25, 0
	s_add_nc_u64 s[28:29], s[18:19], s[30:31]
	s_branch .LBB16_28
.LBB16_26:                              ;   in Loop: Header=BB16_28 Depth=2
	v_mov_b32_e32 v7, 0
.LBB16_27:                              ;   in Loop: Header=BB16_28 Depth=2
	v_dual_lshlrev_b32 v8, 2, v12 :: v_dual_add_nc_u32 v12, s3, v12
	s_delay_alu instid0(VALU_DEP_1) | instskip(NEXT) | instid1(VALU_DEP_2)
	v_dual_add_nc_u32 v6, s7, v6 :: v_dual_add_nc_u32 v9, s38, v8
	v_cmp_le_i32_e32 vcc_lo, s37, v12
	ds_load_b32 v9, v9 offset:4
	s_or_b32 s25, vcc_lo, s25
	s_wait_dscnt 0x0
	s_wait_kmcnt 0x0
	v_dual_fmac_f32 v9, s39, v7 :: v_dual_add_nc_u32 v7, 0, v8
	ds_store_b32 v7, v9
	s_and_not1_b32 exec_lo, exec_lo, s25
	s_cbranch_execz .LBB16_31
.LBB16_28:                              ;   Parent Loop BB16_15 Depth=1
                                        ; =>  This Loop Header: Depth=2
                                        ;       Child Loop BB16_30 Depth 3
	s_and_not1_b32 vcc_lo, exec_lo, s23
	s_cbranch_vccnz .LBB16_26
; %bb.29:                               ;   in Loop: Header=BB16_28 Depth=2
	v_ashrrev_i32_e32 v7, 31, v6
	s_mov_b32 s40, 0
	s_mov_b64 s[30:31], s[26:27]
	s_delay_alu instid0(VALU_DEP_1)
	v_lshl_add_u64 v[8:9], v[6:7], 2, s[28:29]
	v_mov_b32_e32 v7, 0
.LBB16_30:                              ;   Parent Loop BB16_15 Depth=1
                                        ;     Parent Loop BB16_28 Depth=2
                                        ; =>    This Inner Loop Header: Depth=3
	flat_load_b32 v13, v[8:9]
	flat_load_b32 v14, v3, s[30:31]
	s_wait_xcnt 0x1
	v_add_nc_u64_e32 v[8:9], 4, v[8:9]
	s_add_co_i32 s40, s40, 1
	s_wait_xcnt 0x0
	s_add_nc_u64 s[30:31], s[30:31], 4
	s_cmp_eq_u32 s35, s40
	s_wait_loadcnt_dscnt 0x0
	v_fmac_f32_e32 v7, v13, v14
	s_cbranch_scc0 .LBB16_30
	s_branch .LBB16_27
.LBB16_31:                              ;   in Loop: Header=BB16_15 Depth=1
	s_or_b32 exec_lo, exec_lo, s0
.LBB16_32:                              ;   in Loop: Header=BB16_15 Depth=1
	s_delay_alu instid0(SALU_CYCLE_1)
	s_mov_b32 s0, exec_lo
	s_wait_dscnt 0x0
	s_barrier_signal -1
	s_barrier_wait -1
	v_cmpx_gt_i32_e64 s37, v0
	s_cbranch_execz .LBB16_14
; %bb.33:                               ;   in Loop: Header=BB16_15 Depth=1
	v_dual_mov_b32 v6, v11 :: v_dual_mov_b32 v7, v0
	s_mov_b32 s23, 0
.LBB16_34:                              ;   Parent Loop BB16_15 Depth=1
                                        ; =>  This Loop Header: Depth=2
                                        ;       Child Loop BB16_35 Depth 3
	s_delay_alu instid0(VALU_DEP_1)
	v_dual_mov_b32 v8, 0 :: v_dual_mov_b32 v9, v6
	s_mov_b32 s26, -1
	s_mov_b32 s25, 0
	s_mov_b32 s27, 0
.LBB16_35:                              ;   Parent Loop BB16_15 Depth=1
                                        ;     Parent Loop BB16_34 Depth=2
                                        ; =>    This Inner Loop Header: Depth=3
	s_delay_alu instid0(SALU_CYCLE_1)
	v_mov_b32_e32 v12, s27
	s_add_co_i32 s26, s26, 1
	s_add_co_i32 s27, s27, 4
	v_cmp_eq_u32_e32 vcc_lo, s26, v7
	ds_load_b32 v13, v9
	ds_load_b32 v12, v12
	v_add_nc_u32_e32 v9, s11, v9
	s_or_b32 s25, vcc_lo, s25
	s_wait_dscnt 0x0
	v_fmac_f32_e32 v8, v13, v12
	s_and_not1_b32 exec_lo, exec_lo, s25
	s_cbranch_execnz .LBB16_35
; %bb.36:                               ;   in Loop: Header=BB16_34 Depth=2
	s_or_b32 exec_lo, exec_lo, s25
	v_lshl_add_u32 v9, v7, 2, s38
	v_dual_add_nc_u32 v7, s3, v7 :: v_dual_add_nc_u32 v6, s16, v6
	ds_store_b32 v9, v8 offset:4
	v_cmp_le_i32_e32 vcc_lo, s37, v7
	s_or_b32 s23, vcc_lo, s23
	s_delay_alu instid0(SALU_CYCLE_1)
	s_and_not1_b32 exec_lo, exec_lo, s23
	s_cbranch_execnz .LBB16_34
	s_branch .LBB16_14
.LBB16_37:
	s_and_saveexec_b32 s0, s2
	s_cbranch_execz .LBB16_49
; %bb.38:
	s_cmp_lg_u32 s10, 1
	s_cselect_b32 s1, -1, 0
	s_cmp_lg_u32 s14, 1
	s_cselect_b32 s2, -1, 0
	s_lshl_b32 s0, s10, 2
	s_or_b32 s4, s1, s2
	v_add3_u32 v2, 0, s0, v2
	s_mov_b32 s1, 0
	s_lshl_b32 s2, s3, 2
	s_xor_b32 s4, s4, -1
	s_branch .LBB16_40
.LBB16_39:                              ;   in Loop: Header=BB16_40 Depth=1
	s_or_b32 exec_lo, exec_lo, s6
	v_dual_add_nc_u32 v0, s3, v0 :: v_dual_add_nc_u32 v1, s3, v1
	v_add_nc_u32_e32 v2, s2, v2
	s_delay_alu instid0(VALU_DEP_2) | instskip(SKIP_1) | instid1(SALU_CYCLE_1)
	v_cmp_le_i32_e32 vcc_lo, s10, v0
	s_or_b32 s1, vcc_lo, s1
	s_and_not1_b32 exec_lo, exec_lo, s1
	s_cbranch_execz .LBB16_49
.LBB16_40:                              ; =>This Loop Header: Depth=1
                                        ;     Child Loop BB16_43 Depth 2
                                        ;     Child Loop BB16_48 Depth 2
	v_cmp_gt_u32_e64 s5, 6, v1
	v_mov_b32_e32 v3, 0
	s_mov_b32 s6, exec_lo
	v_cmpx_lt_u32_e32 5, v1
	s_cbranch_execz .LBB16_46
; %bb.41:                               ;   in Loop: Header=BB16_40 Depth=1
	v_lshlrev_b32_e32 v3, 1, v0
	s_mov_b32 s8, -1
	s_delay_alu instid0(VALU_DEP_1) | instskip(SKIP_2) | instid1(SALU_CYCLE_1)
	v_cmp_ge_i32_e32 vcc_lo, v3, v0
	v_mov_b32_e32 v3, 0
	s_and_b32 s9, s4, vcc_lo
	s_and_saveexec_b32 s7, s9
	s_cbranch_execz .LBB16_45
; %bb.42:                               ;   in Loop: Header=BB16_40 Depth=1
	v_dual_mov_b32 v4, v2 :: v_dual_bitop2_b32 v3, -4, v1 bitop3:0x40
	s_mov_b32 s8, 0
	s_mov_b32 s9, 0
.LBB16_43:                              ;   Parent Loop BB16_40 Depth=1
                                        ; =>  This Inner Loop Header: Depth=2
	ds_load_2addr_b32 v[6:7], v4 offset1:1
	ds_load_2addr_b32 v[8:9], v4 offset0:2 offset1:3
	v_add_nc_u32_e32 v10, s9, v0
	s_add_co_i32 s9, s9, 4
	v_add_nc_u32_e32 v4, 16, v4
	v_cmp_eq_u32_e32 vcc_lo, s9, v3
	s_delay_alu instid0(VALU_DEP_3) | instskip(SKIP_1) | instid1(VALU_DEP_1)
	v_ashrrev_i32_e32 v11, 31, v10
	s_or_b32 s8, vcc_lo, s8
	v_lshl_add_u64 v[10:11], v[10:11], 2, s[12:13]
	s_wait_dscnt 0x0
	global_store_b128 v[10:11], v[6:9], off
	s_wait_xcnt 0x0
	s_and_not1_b32 exec_lo, exec_lo, s8
	s_cbranch_execnz .LBB16_43
; %bb.44:                               ;   in Loop: Header=BB16_40 Depth=1
	s_or_b32 exec_lo, exec_lo, s8
	v_cmp_ne_u32_e32 vcc_lo, v1, v3
	s_or_not1_b32 s8, vcc_lo, exec_lo
.LBB16_45:                              ;   in Loop: Header=BB16_40 Depth=1
	s_or_b32 exec_lo, exec_lo, s7
	s_delay_alu instid0(SALU_CYCLE_1) | instskip(SKIP_1) | instid1(SALU_CYCLE_1)
	s_and_not1_b32 s5, s5, exec_lo
	s_and_b32 s7, s8, exec_lo
	s_or_b32 s5, s5, s7
.LBB16_46:                              ;   in Loop: Header=BB16_40 Depth=1
	s_or_b32 exec_lo, exec_lo, s6
	s_and_saveexec_b32 s6, s5
	s_cbranch_execz .LBB16_39
; %bb.47:                               ;   in Loop: Header=BB16_40 Depth=1
	v_mad_u32 v4, s14, v3, v0
	v_mul_lo_u32 v5, s0, v3
	s_mov_b32 s5, 0
.LBB16_48:                              ;   Parent Loop BB16_40 Depth=1
                                        ; =>  This Inner Loop Header: Depth=2
	s_delay_alu instid0(VALU_DEP_1)
	v_dual_add_nc_u32 v6, v2, v5 :: v_dual_add_nc_u32 v3, 1, v3
	v_add_nc_u32_e32 v5, s0, v5
	ds_load_b32 v6, v6
	v_cmp_eq_u32_e32 vcc_lo, v1, v3
	s_or_b32 s5, vcc_lo, s5
	s_wait_dscnt 0x0
	global_store_b32 v4, v6, s[12:13] scale_offset
	s_wait_xcnt 0x0
	v_add_nc_u32_e32 v4, s14, v4
	s_and_not1_b32 exec_lo, exec_lo, s5
	s_cbranch_execnz .LBB16_48
	s_branch .LBB16_39
.LBB16_49:
	s_endpgm
	.section	.rodata,"a",@progbits
	.p2align	6, 0x0
	.amdhsa_kernel _ZN9rocsolver6v33100L21larft_kernel_backwardIfPKPfEEv15rocblas_storev_iiT0_iilPT_lS8_il
		.amdhsa_group_segment_fixed_size 0
		.amdhsa_private_segment_fixed_size 0
		.amdhsa_kernarg_size 336
		.amdhsa_user_sgpr_count 2
		.amdhsa_user_sgpr_dispatch_ptr 0
		.amdhsa_user_sgpr_queue_ptr 0
		.amdhsa_user_sgpr_kernarg_segment_ptr 1
		.amdhsa_user_sgpr_dispatch_id 0
		.amdhsa_user_sgpr_kernarg_preload_length 0
		.amdhsa_user_sgpr_kernarg_preload_offset 0
		.amdhsa_user_sgpr_private_segment_size 0
		.amdhsa_wavefront_size32 1
		.amdhsa_uses_dynamic_stack 0
		.amdhsa_enable_private_segment 0
		.amdhsa_system_sgpr_workgroup_id_x 1
		.amdhsa_system_sgpr_workgroup_id_y 1
		.amdhsa_system_sgpr_workgroup_id_z 0
		.amdhsa_system_sgpr_workgroup_info 0
		.amdhsa_system_vgpr_workitem_id 0
		.amdhsa_next_free_vgpr 16
		.amdhsa_next_free_sgpr 42
		.amdhsa_named_barrier_count 0
		.amdhsa_reserve_vcc 1
		.amdhsa_float_round_mode_32 0
		.amdhsa_float_round_mode_16_64 0
		.amdhsa_float_denorm_mode_32 3
		.amdhsa_float_denorm_mode_16_64 3
		.amdhsa_fp16_overflow 0
		.amdhsa_memory_ordered 1
		.amdhsa_forward_progress 1
		.amdhsa_inst_pref_size 16
		.amdhsa_round_robin_scheduling 0
		.amdhsa_exception_fp_ieee_invalid_op 0
		.amdhsa_exception_fp_denorm_src 0
		.amdhsa_exception_fp_ieee_div_zero 0
		.amdhsa_exception_fp_ieee_overflow 0
		.amdhsa_exception_fp_ieee_underflow 0
		.amdhsa_exception_fp_ieee_inexact 0
		.amdhsa_exception_int_div_zero 0
	.end_amdhsa_kernel
	.section	.text._ZN9rocsolver6v33100L21larft_kernel_backwardIfPKPfEEv15rocblas_storev_iiT0_iilPT_lS8_il,"axG",@progbits,_ZN9rocsolver6v33100L21larft_kernel_backwardIfPKPfEEv15rocblas_storev_iiT0_iilPT_lS8_il,comdat
.Lfunc_end16:
	.size	_ZN9rocsolver6v33100L21larft_kernel_backwardIfPKPfEEv15rocblas_storev_iiT0_iilPT_lS8_il, .Lfunc_end16-_ZN9rocsolver6v33100L21larft_kernel_backwardIfPKPfEEv15rocblas_storev_iiT0_iilPT_lS8_il
                                        ; -- End function
	.set _ZN9rocsolver6v33100L21larft_kernel_backwardIfPKPfEEv15rocblas_storev_iiT0_iilPT_lS8_il.num_vgpr, 16
	.set _ZN9rocsolver6v33100L21larft_kernel_backwardIfPKPfEEv15rocblas_storev_iiT0_iilPT_lS8_il.num_agpr, 0
	.set _ZN9rocsolver6v33100L21larft_kernel_backwardIfPKPfEEv15rocblas_storev_iiT0_iilPT_lS8_il.numbered_sgpr, 42
	.set _ZN9rocsolver6v33100L21larft_kernel_backwardIfPKPfEEv15rocblas_storev_iiT0_iilPT_lS8_il.num_named_barrier, 0
	.set _ZN9rocsolver6v33100L21larft_kernel_backwardIfPKPfEEv15rocblas_storev_iiT0_iilPT_lS8_il.private_seg_size, 0
	.set _ZN9rocsolver6v33100L21larft_kernel_backwardIfPKPfEEv15rocblas_storev_iiT0_iilPT_lS8_il.uses_vcc, 1
	.set _ZN9rocsolver6v33100L21larft_kernel_backwardIfPKPfEEv15rocblas_storev_iiT0_iilPT_lS8_il.uses_flat_scratch, 0
	.set _ZN9rocsolver6v33100L21larft_kernel_backwardIfPKPfEEv15rocblas_storev_iiT0_iilPT_lS8_il.has_dyn_sized_stack, 0
	.set _ZN9rocsolver6v33100L21larft_kernel_backwardIfPKPfEEv15rocblas_storev_iiT0_iilPT_lS8_il.has_recursion, 0
	.set _ZN9rocsolver6v33100L21larft_kernel_backwardIfPKPfEEv15rocblas_storev_iiT0_iilPT_lS8_il.has_indirect_call, 0
	.section	.AMDGPU.csdata,"",@progbits
; Kernel info:
; codeLenInByte = 1956
; TotalNumSgprs: 44
; NumVgprs: 16
; ScratchSize: 0
; MemoryBound: 0
; FloatMode: 240
; IeeeMode: 1
; LDSByteSize: 0 bytes/workgroup (compile time only)
; SGPRBlocks: 0
; VGPRBlocks: 0
; NumSGPRsForWavesPerEU: 44
; NumVGPRsForWavesPerEU: 16
; NamedBarCnt: 0
; Occupancy: 16
; WaveLimiterHint : 0
; COMPUTE_PGM_RSRC2:SCRATCH_EN: 0
; COMPUTE_PGM_RSRC2:USER_SGPR: 2
; COMPUTE_PGM_RSRC2:TRAP_HANDLER: 0
; COMPUTE_PGM_RSRC2:TGID_X_EN: 1
; COMPUTE_PGM_RSRC2:TGID_Y_EN: 1
; COMPUTE_PGM_RSRC2:TGID_Z_EN: 0
; COMPUTE_PGM_RSRC2:TIDIG_COMP_CNT: 0
	.section	.text._ZN9rocsolver6v33100L9copymatA1IfPKPfEEviiT0_iilPT_,"axG",@progbits,_ZN9rocsolver6v33100L9copymatA1IfPKPfEEviiT0_iilPT_,comdat
	.globl	_ZN9rocsolver6v33100L9copymatA1IfPKPfEEviiT0_iilPT_ ; -- Begin function _ZN9rocsolver6v33100L9copymatA1IfPKPfEEviiT0_iilPT_
	.p2align	8
	.type	_ZN9rocsolver6v33100L9copymatA1IfPKPfEEviiT0_iilPT_,@function
_ZN9rocsolver6v33100L9copymatA1IfPKPfEEviiT0_iilPT_: ; @_ZN9rocsolver6v33100L9copymatA1IfPKPfEEviiT0_iilPT_
; %bb.0:
	s_clause 0x1
	s_load_b32 s2, s[0:1], 0x34
	s_load_b64 s[4:5], s[0:1], 0x0
	s_bfe_u32 s7, ttmp6, 0x40010
	s_bfe_u32 s10, ttmp6, 0x4000c
	s_and_b32 s3, ttmp7, 0xffff
	s_add_co_i32 s7, s7, 1
	s_add_co_i32 s10, s10, 1
	s_bfe_u32 s8, ttmp6, 0x40004
	s_and_b32 s9, ttmp6, 15
	s_mul_i32 s7, s3, s7
	s_mul_i32 s10, ttmp9, s10
	s_getreg_b32 s6, hwreg(HW_REG_IB_STS2, 6, 4)
	v_and_b32_e32 v1, 0x3ff, v0
	v_bfe_u32 v0, v0, 10, 10
	s_add_co_i32 s8, s8, s7
	s_add_co_i32 s9, s9, s10
	s_wait_kmcnt 0x0
	s_lshr_b32 s7, s2, 16
	s_and_b32 s2, s2, 0xffff
	s_cmp_eq_u32 s6, 0
	s_cselect_b32 s3, s3, s8
	s_cselect_b32 s8, ttmp9, s9
	v_mad_u32 v0, s3, s7, v0
	v_mad_u32 v1, s8, s2, v1
	s_mov_b32 s3, 0
	s_delay_alu instid0(VALU_DEP_2) | instskip(NEXT) | instid1(VALU_DEP_2)
	v_cmp_gt_u32_e32 vcc_lo, s4, v0
	v_cmp_gt_u32_e64 s2, s5, v1
	s_and_b32 s2, s2, vcc_lo
	s_delay_alu instid0(SALU_CYCLE_1)
	s_and_saveexec_b32 s7, s2
	s_cbranch_execz .LBB17_2
; %bb.1:
	s_load_b128 s[8:11], s[0:1], 0x8
	s_bfe_u32 s2, ttmp6, 0x40014
	s_lshr_b32 s12, ttmp7, 16
	s_add_co_i32 s2, s2, 1
	s_bfe_u32 s14, ttmp6, 0x40008
	s_mul_i32 s2, s12, s2
	s_ashr_i32 s7, s4, 31
	s_ashr_i32 s13, s5, 31
	s_add_co_i32 s14, s14, s2
	s_cmp_eq_u32 s6, 0
	s_mov_b32 s6, s4
	s_cselect_b32 s2, s12, s14
	s_mov_b32 s12, s5
	s_load_b64 s[14:15], s[0:1], 0x20
	s_wait_kmcnt 0x0
	s_load_b64 s[16:17], s[8:9], s2 offset:0x0 scale_offset
	v_mad_u32 v2, v1, s11, v0
	s_ashr_i32 s1, s10, 31
	s_mov_b32 s0, s10
	v_mad_u32 v0, v1, s4, v0
	s_lshl_b64 s[0:1], s[0:1], 2
	s_wait_kmcnt 0x0
	s_add_nc_u64 s[0:1], s[16:17], s[0:1]
	flat_load_b32 v2, v2, s[0:1] scale_offset
	s_wait_xcnt 0x0
	s_mul_u64 s[0:1], s[6:7], s[2:3]
	s_delay_alu instid0(SALU_CYCLE_1) | instskip(NEXT) | instid1(SALU_CYCLE_1)
	s_mul_u64 s[0:1], s[0:1], s[12:13]
	s_lshl_b64 s[0:1], s[0:1], 2
	s_delay_alu instid0(SALU_CYCLE_1)
	s_add_nc_u64 s[0:1], s[14:15], s[0:1]
	s_wait_loadcnt_dscnt 0x0
	global_store_b32 v0, v2, s[0:1] scale_offset
.LBB17_2:
	s_endpgm
	.section	.rodata,"a",@progbits
	.p2align	6, 0x0
	.amdhsa_kernel _ZN9rocsolver6v33100L9copymatA1IfPKPfEEviiT0_iilPT_
		.amdhsa_group_segment_fixed_size 0
		.amdhsa_private_segment_fixed_size 0
		.amdhsa_kernarg_size 296
		.amdhsa_user_sgpr_count 2
		.amdhsa_user_sgpr_dispatch_ptr 0
		.amdhsa_user_sgpr_queue_ptr 0
		.amdhsa_user_sgpr_kernarg_segment_ptr 1
		.amdhsa_user_sgpr_dispatch_id 0
		.amdhsa_user_sgpr_kernarg_preload_length 0
		.amdhsa_user_sgpr_kernarg_preload_offset 0
		.amdhsa_user_sgpr_private_segment_size 0
		.amdhsa_wavefront_size32 1
		.amdhsa_uses_dynamic_stack 0
		.amdhsa_enable_private_segment 0
		.amdhsa_system_sgpr_workgroup_id_x 1
		.amdhsa_system_sgpr_workgroup_id_y 1
		.amdhsa_system_sgpr_workgroup_id_z 1
		.amdhsa_system_sgpr_workgroup_info 0
		.amdhsa_system_vgpr_workitem_id 1
		.amdhsa_next_free_vgpr 3
		.amdhsa_next_free_sgpr 18
		.amdhsa_named_barrier_count 0
		.amdhsa_reserve_vcc 1
		.amdhsa_float_round_mode_32 0
		.amdhsa_float_round_mode_16_64 0
		.amdhsa_float_denorm_mode_32 3
		.amdhsa_float_denorm_mode_16_64 3
		.amdhsa_fp16_overflow 0
		.amdhsa_memory_ordered 1
		.amdhsa_forward_progress 1
		.amdhsa_inst_pref_size 3
		.amdhsa_round_robin_scheduling 0
		.amdhsa_exception_fp_ieee_invalid_op 0
		.amdhsa_exception_fp_denorm_src 0
		.amdhsa_exception_fp_ieee_div_zero 0
		.amdhsa_exception_fp_ieee_overflow 0
		.amdhsa_exception_fp_ieee_underflow 0
		.amdhsa_exception_fp_ieee_inexact 0
		.amdhsa_exception_int_div_zero 0
	.end_amdhsa_kernel
	.section	.text._ZN9rocsolver6v33100L9copymatA1IfPKPfEEviiT0_iilPT_,"axG",@progbits,_ZN9rocsolver6v33100L9copymatA1IfPKPfEEviiT0_iilPT_,comdat
.Lfunc_end17:
	.size	_ZN9rocsolver6v33100L9copymatA1IfPKPfEEviiT0_iilPT_, .Lfunc_end17-_ZN9rocsolver6v33100L9copymatA1IfPKPfEEviiT0_iilPT_
                                        ; -- End function
	.set _ZN9rocsolver6v33100L9copymatA1IfPKPfEEviiT0_iilPT_.num_vgpr, 3
	.set _ZN9rocsolver6v33100L9copymatA1IfPKPfEEviiT0_iilPT_.num_agpr, 0
	.set _ZN9rocsolver6v33100L9copymatA1IfPKPfEEviiT0_iilPT_.numbered_sgpr, 18
	.set _ZN9rocsolver6v33100L9copymatA1IfPKPfEEviiT0_iilPT_.num_named_barrier, 0
	.set _ZN9rocsolver6v33100L9copymatA1IfPKPfEEviiT0_iilPT_.private_seg_size, 0
	.set _ZN9rocsolver6v33100L9copymatA1IfPKPfEEviiT0_iilPT_.uses_vcc, 1
	.set _ZN9rocsolver6v33100L9copymatA1IfPKPfEEviiT0_iilPT_.uses_flat_scratch, 0
	.set _ZN9rocsolver6v33100L9copymatA1IfPKPfEEviiT0_iilPT_.has_dyn_sized_stack, 0
	.set _ZN9rocsolver6v33100L9copymatA1IfPKPfEEviiT0_iilPT_.has_recursion, 0
	.set _ZN9rocsolver6v33100L9copymatA1IfPKPfEEviiT0_iilPT_.has_indirect_call, 0
	.section	.AMDGPU.csdata,"",@progbits
; Kernel info:
; codeLenInByte = 360
; TotalNumSgprs: 20
; NumVgprs: 3
; ScratchSize: 0
; MemoryBound: 0
; FloatMode: 240
; IeeeMode: 1
; LDSByteSize: 0 bytes/workgroup (compile time only)
; SGPRBlocks: 0
; VGPRBlocks: 0
; NumSGPRsForWavesPerEU: 20
; NumVGPRsForWavesPerEU: 3
; NamedBarCnt: 0
; Occupancy: 16
; WaveLimiterHint : 1
; COMPUTE_PGM_RSRC2:SCRATCH_EN: 0
; COMPUTE_PGM_RSRC2:USER_SGPR: 2
; COMPUTE_PGM_RSRC2:TRAP_HANDLER: 0
; COMPUTE_PGM_RSRC2:TGID_X_EN: 1
; COMPUTE_PGM_RSRC2:TGID_Y_EN: 1
; COMPUTE_PGM_RSRC2:TGID_Z_EN: 1
; COMPUTE_PGM_RSRC2:TIDIG_COMP_CNT: 1
	.section	.text._ZN9rocsolver6v33100L8addmatA1IfPKPfEEviiT0_iilPT_,"axG",@progbits,_ZN9rocsolver6v33100L8addmatA1IfPKPfEEviiT0_iilPT_,comdat
	.globl	_ZN9rocsolver6v33100L8addmatA1IfPKPfEEviiT0_iilPT_ ; -- Begin function _ZN9rocsolver6v33100L8addmatA1IfPKPfEEviiT0_iilPT_
	.p2align	8
	.type	_ZN9rocsolver6v33100L8addmatA1IfPKPfEEviiT0_iilPT_,@function
_ZN9rocsolver6v33100L8addmatA1IfPKPfEEviiT0_iilPT_: ; @_ZN9rocsolver6v33100L8addmatA1IfPKPfEEviiT0_iilPT_
; %bb.0:
	s_clause 0x1
	s_load_b32 s2, s[0:1], 0x34
	s_load_b64 s[4:5], s[0:1], 0x0
	s_bfe_u32 s7, ttmp6, 0x40010
	s_bfe_u32 s10, ttmp6, 0x4000c
	s_and_b32 s3, ttmp7, 0xffff
	s_add_co_i32 s7, s7, 1
	s_add_co_i32 s10, s10, 1
	s_bfe_u32 s8, ttmp6, 0x40004
	s_and_b32 s9, ttmp6, 15
	s_mul_i32 s7, s3, s7
	s_mul_i32 s10, ttmp9, s10
	s_getreg_b32 s6, hwreg(HW_REG_IB_STS2, 6, 4)
	v_and_b32_e32 v1, 0x3ff, v0
	v_bfe_u32 v0, v0, 10, 10
	s_add_co_i32 s8, s8, s7
	s_add_co_i32 s9, s9, s10
	s_wait_kmcnt 0x0
	s_lshr_b32 s7, s2, 16
	s_and_b32 s2, s2, 0xffff
	s_cmp_eq_u32 s6, 0
	s_cselect_b32 s3, s3, s8
	s_cselect_b32 s8, ttmp9, s9
	v_mad_u32 v0, s3, s7, v0
	v_mad_u32 v1, s8, s2, v1
	s_mov_b32 s3, 0
	s_delay_alu instid0(VALU_DEP_2) | instskip(NEXT) | instid1(VALU_DEP_2)
	v_cmp_gt_u32_e32 vcc_lo, s4, v0
	v_cmp_gt_u32_e64 s2, s5, v1
	s_and_b32 s2, s2, vcc_lo
	s_delay_alu instid0(SALU_CYCLE_1)
	s_and_saveexec_b32 s7, s2
	s_cbranch_execz .LBB18_2
; %bb.1:
	s_load_b128 s[8:11], s[0:1], 0x8
	s_bfe_u32 s2, ttmp6, 0x40014
	s_lshr_b32 s12, ttmp7, 16
	s_add_co_i32 s2, s2, 1
	s_bfe_u32 s14, ttmp6, 0x40008
	s_mul_i32 s2, s12, s2
	s_ashr_i32 s7, s4, 31
	s_ashr_i32 s13, s5, 31
	s_add_co_i32 s14, s14, s2
	s_cmp_eq_u32 s6, 0
	v_mad_u32 v2, v1, s4, v0
	s_cselect_b32 s2, s12, s14
	s_mov_b32 s6, s4
	s_mov_b32 s12, s5
	s_load_b64 s[14:15], s[0:1], 0x20
	s_wait_kmcnt 0x0
	s_load_b64 s[16:17], s[8:9], s2 offset:0x0 scale_offset
	v_mad_u32 v0, v1, s11, v0
	s_mul_u64 s[0:1], s[6:7], s[2:3]
	s_ashr_i32 s3, s10, 31
	s_mul_u64 s[0:1], s[0:1], s[12:13]
	s_wait_xcnt 0x0
	s_mov_b32 s2, s10
	s_lshl_b64 s[0:1], s[0:1], 2
	s_lshl_b64 s[2:3], s[2:3], 2
	s_add_nc_u64 s[0:1], s[14:15], s[0:1]
	s_wait_kmcnt 0x0
	s_add_nc_u64 s[2:3], s[16:17], s[2:3]
	global_load_b32 v1, v2, s[0:1] scale_offset
	flat_load_b32 v3, v0, s[2:3] scale_offset
	s_wait_loadcnt_dscnt 0x0
	v_sub_f32_e32 v1, v3, v1
	flat_store_b32 v0, v1, s[2:3] scale_offset
.LBB18_2:
	s_endpgm
	.section	.rodata,"a",@progbits
	.p2align	6, 0x0
	.amdhsa_kernel _ZN9rocsolver6v33100L8addmatA1IfPKPfEEviiT0_iilPT_
		.amdhsa_group_segment_fixed_size 0
		.amdhsa_private_segment_fixed_size 0
		.amdhsa_kernarg_size 296
		.amdhsa_user_sgpr_count 2
		.amdhsa_user_sgpr_dispatch_ptr 0
		.amdhsa_user_sgpr_queue_ptr 0
		.amdhsa_user_sgpr_kernarg_segment_ptr 1
		.amdhsa_user_sgpr_dispatch_id 0
		.amdhsa_user_sgpr_kernarg_preload_length 0
		.amdhsa_user_sgpr_kernarg_preload_offset 0
		.amdhsa_user_sgpr_private_segment_size 0
		.amdhsa_wavefront_size32 1
		.amdhsa_uses_dynamic_stack 0
		.amdhsa_enable_private_segment 0
		.amdhsa_system_sgpr_workgroup_id_x 1
		.amdhsa_system_sgpr_workgroup_id_y 1
		.amdhsa_system_sgpr_workgroup_id_z 1
		.amdhsa_system_sgpr_workgroup_info 0
		.amdhsa_system_vgpr_workitem_id 1
		.amdhsa_next_free_vgpr 4
		.amdhsa_next_free_sgpr 18
		.amdhsa_named_barrier_count 0
		.amdhsa_reserve_vcc 1
		.amdhsa_float_round_mode_32 0
		.amdhsa_float_round_mode_16_64 0
		.amdhsa_float_denorm_mode_32 3
		.amdhsa_float_denorm_mode_16_64 3
		.amdhsa_fp16_overflow 0
		.amdhsa_memory_ordered 1
		.amdhsa_forward_progress 1
		.amdhsa_inst_pref_size 3
		.amdhsa_round_robin_scheduling 0
		.amdhsa_exception_fp_ieee_invalid_op 0
		.amdhsa_exception_fp_denorm_src 0
		.amdhsa_exception_fp_ieee_div_zero 0
		.amdhsa_exception_fp_ieee_overflow 0
		.amdhsa_exception_fp_ieee_underflow 0
		.amdhsa_exception_fp_ieee_inexact 0
		.amdhsa_exception_int_div_zero 0
	.end_amdhsa_kernel
	.section	.text._ZN9rocsolver6v33100L8addmatA1IfPKPfEEviiT0_iilPT_,"axG",@progbits,_ZN9rocsolver6v33100L8addmatA1IfPKPfEEviiT0_iilPT_,comdat
.Lfunc_end18:
	.size	_ZN9rocsolver6v33100L8addmatA1IfPKPfEEviiT0_iilPT_, .Lfunc_end18-_ZN9rocsolver6v33100L8addmatA1IfPKPfEEviiT0_iilPT_
                                        ; -- End function
	.set _ZN9rocsolver6v33100L8addmatA1IfPKPfEEviiT0_iilPT_.num_vgpr, 4
	.set _ZN9rocsolver6v33100L8addmatA1IfPKPfEEviiT0_iilPT_.num_agpr, 0
	.set _ZN9rocsolver6v33100L8addmatA1IfPKPfEEviiT0_iilPT_.numbered_sgpr, 18
	.set _ZN9rocsolver6v33100L8addmatA1IfPKPfEEviiT0_iilPT_.num_named_barrier, 0
	.set _ZN9rocsolver6v33100L8addmatA1IfPKPfEEviiT0_iilPT_.private_seg_size, 0
	.set _ZN9rocsolver6v33100L8addmatA1IfPKPfEEviiT0_iilPT_.uses_vcc, 1
	.set _ZN9rocsolver6v33100L8addmatA1IfPKPfEEviiT0_iilPT_.uses_flat_scratch, 0
	.set _ZN9rocsolver6v33100L8addmatA1IfPKPfEEviiT0_iilPT_.has_dyn_sized_stack, 0
	.set _ZN9rocsolver6v33100L8addmatA1IfPKPfEEviiT0_iilPT_.has_recursion, 0
	.set _ZN9rocsolver6v33100L8addmatA1IfPKPfEEviiT0_iilPT_.has_indirect_call, 0
	.section	.AMDGPU.csdata,"",@progbits
; Kernel info:
; codeLenInByte = 368
; TotalNumSgprs: 20
; NumVgprs: 4
; ScratchSize: 0
; MemoryBound: 0
; FloatMode: 240
; IeeeMode: 1
; LDSByteSize: 0 bytes/workgroup (compile time only)
; SGPRBlocks: 0
; VGPRBlocks: 0
; NumSGPRsForWavesPerEU: 20
; NumVGPRsForWavesPerEU: 4
; NamedBarCnt: 0
; Occupancy: 16
; WaveLimiterHint : 1
; COMPUTE_PGM_RSRC2:SCRATCH_EN: 0
; COMPUTE_PGM_RSRC2:USER_SGPR: 2
; COMPUTE_PGM_RSRC2:TRAP_HANDLER: 0
; COMPUTE_PGM_RSRC2:TGID_X_EN: 1
; COMPUTE_PGM_RSRC2:TGID_Y_EN: 1
; COMPUTE_PGM_RSRC2:TGID_Z_EN: 1
; COMPUTE_PGM_RSRC2:TIDIG_COMP_CNT: 1
	.section	.text._ZN9rocsolver6v33100L17check_singularityIfPKPfEEviT0_iilPi,"axG",@progbits,_ZN9rocsolver6v33100L17check_singularityIfPKPfEEviT0_iilPi,comdat
	.globl	_ZN9rocsolver6v33100L17check_singularityIfPKPfEEviT0_iilPi ; -- Begin function _ZN9rocsolver6v33100L17check_singularityIfPKPfEEviT0_iilPi
	.p2align	8
	.type	_ZN9rocsolver6v33100L17check_singularityIfPKPfEEviT0_iilPi,@function
_ZN9rocsolver6v33100L17check_singularityIfPKPfEEviT0_iilPi: ; @_ZN9rocsolver6v33100L17check_singularityIfPKPfEEviT0_iilPi
; %bb.0:
	s_bfe_u32 s2, ttmp6, 0x4000c
	v_bfe_u32 v0, v0, 10, 10
	s_add_co_i32 s2, s2, 1
	s_and_b32 s3, ttmp6, 15
	s_mul_i32 s2, ttmp9, s2
	s_getreg_b32 s4, hwreg(HW_REG_IB_STS2, 6, 4)
	s_add_co_i32 s3, s3, s2
	s_cmp_eq_u32 s4, 0
	v_cmp_eq_u32_e32 vcc_lo, 0, v0
	s_cselect_b32 s4, ttmp9, s3
	s_delay_alu instid0(SALU_CYCLE_1)
	s_ashr_i32 s5, s4, 31
	s_and_saveexec_b32 s2, vcc_lo
; %bb.1:
	v_mov_b32_e32 v1, 0
	ds_store_b32 v1, v1
; %bb.2:
	s_or_b32 exec_lo, exec_lo, s2
	s_load_b32 s8, s[0:1], 0x0
	s_mov_b32 s9, exec_lo
	s_wait_dscnt 0x0
	s_barrier_signal -1
	s_barrier_wait -1
	s_wait_kmcnt 0x0
	v_cmpx_gt_i32_e64 s8, v0
	s_cbranch_execz .LBB19_9
; %bb.3:
	s_clause 0x1
	s_load_b128 s[12:15], s[0:1], 0x8
	s_load_u16 s10, s[0:1], 0x36
	s_lshl_b64 s[2:3], s[4:5], 3
	v_mov_b32_e32 v1, 0
	s_wait_kmcnt 0x0
	s_add_nc_u64 s[2:3], s[12:13], s[2:3]
	s_ashr_i32 s7, s14, 31
	s_load_b64 s[2:3], s[2:3], 0x0
	s_mov_b32 s6, s14
	s_add_co_i32 s11, s15, 1
	s_lshl_b64 s[6:7], s[6:7], 2
	s_mov_b32 s12, 0
	s_wait_kmcnt 0x0
	s_add_nc_u64 s[6:7], s[2:3], s[6:7]
	s_branch .LBB19_5
.LBB19_4:                               ;   in Loop: Header=BB19_5 Depth=1
	s_or_b32 exec_lo, exec_lo, s13
	v_add_nc_u32_e32 v0, s10, v0
	s_delay_alu instid0(VALU_DEP_1) | instskip(SKIP_1) | instid1(SALU_CYCLE_1)
	v_cmp_le_i32_e64 s2, s8, v0
	s_or_b32 s12, s2, s12
	s_and_not1_b32 exec_lo, exec_lo, s12
	s_cbranch_execz .LBB19_9
.LBB19_5:                               ; =>This Loop Header: Depth=1
                                        ;     Child Loop BB19_8 Depth 2
	v_mul_lo_u32 v2, v0, s11
	s_mov_b32 s13, exec_lo
	flat_load_b32 v2, v2, s[6:7] scale_offset
	s_wait_loadcnt_dscnt 0x0
	v_cmpx_eq_f32_e32 0, v2
	s_cbranch_execz .LBB19_4
; %bb.6:                                ;   in Loop: Header=BB19_5 Depth=1
	ds_load_b32 v2, v1
	s_wait_dscnt 0x0
	v_readfirstlane_b32 s3, v2
	v_add_nc_u32_e32 v2, 1, v0
	s_cmp_eq_u32 s3, 0
	s_delay_alu instid0(VALU_DEP_1) | instskip(SKIP_1) | instid1(SALU_CYCLE_1)
	v_cmp_gt_i32_e64 s2, s3, v2
	s_cselect_b32 s14, -1, 0
	s_or_b32 s2, s14, s2
	s_delay_alu instid0(SALU_CYCLE_1)
	s_and_b32 exec_lo, exec_lo, s2
	s_cbranch_execz .LBB19_4
; %bb.7:                                ;   in Loop: Header=BB19_5 Depth=1
	v_mov_b32_e32 v3, s3
	s_mov_b32 s14, 0
.LBB19_8:                               ;   Parent Loop BB19_5 Depth=1
                                        ; =>  This Inner Loop Header: Depth=2
	ds_cmpstore_rtn_b32 v3, v1, v2, v3
	s_wait_dscnt 0x0
	v_cmp_ne_u32_e64 s2, 0, v3
	v_cmp_le_i32_e64 s3, v3, v2
	s_and_b32 s2, s2, s3
	s_delay_alu instid0(SALU_CYCLE_1) | instskip(NEXT) | instid1(SALU_CYCLE_1)
	s_and_b32 s2, exec_lo, s2
	s_or_b32 s14, s2, s14
	s_delay_alu instid0(SALU_CYCLE_1)
	s_and_not1_b32 exec_lo, exec_lo, s14
	s_cbranch_execnz .LBB19_8
	s_branch .LBB19_4
.LBB19_9:
	s_or_b32 exec_lo, exec_lo, s9
	s_barrier_signal -1
	s_barrier_wait -1
	s_and_saveexec_b32 s2, vcc_lo
	s_cbranch_execz .LBB19_11
; %bb.10:
	v_mov_b32_e32 v0, 0
	s_load_b64 s[0:1], s[0:1], 0x20
	s_lshl_b64 s[2:3], s[4:5], 2
	ds_load_b32 v1, v0
	s_wait_kmcnt 0x0
	s_add_nc_u64 s[0:1], s[0:1], s[2:3]
	s_wait_dscnt 0x0
	global_store_b32 v0, v1, s[0:1]
.LBB19_11:
	s_endpgm
	.section	.rodata,"a",@progbits
	.p2align	6, 0x0
	.amdhsa_kernel _ZN9rocsolver6v33100L17check_singularityIfPKPfEEviT0_iilPi
		.amdhsa_group_segment_fixed_size 4
		.amdhsa_private_segment_fixed_size 0
		.amdhsa_kernarg_size 296
		.amdhsa_user_sgpr_count 2
		.amdhsa_user_sgpr_dispatch_ptr 0
		.amdhsa_user_sgpr_queue_ptr 0
		.amdhsa_user_sgpr_kernarg_segment_ptr 1
		.amdhsa_user_sgpr_dispatch_id 0
		.amdhsa_user_sgpr_kernarg_preload_length 0
		.amdhsa_user_sgpr_kernarg_preload_offset 0
		.amdhsa_user_sgpr_private_segment_size 0
		.amdhsa_wavefront_size32 1
		.amdhsa_uses_dynamic_stack 0
		.amdhsa_enable_private_segment 0
		.amdhsa_system_sgpr_workgroup_id_x 1
		.amdhsa_system_sgpr_workgroup_id_y 0
		.amdhsa_system_sgpr_workgroup_id_z 0
		.amdhsa_system_sgpr_workgroup_info 0
		.amdhsa_system_vgpr_workitem_id 1
		.amdhsa_next_free_vgpr 4
		.amdhsa_next_free_sgpr 16
		.amdhsa_named_barrier_count 0
		.amdhsa_reserve_vcc 1
		.amdhsa_float_round_mode_32 0
		.amdhsa_float_round_mode_16_64 0
		.amdhsa_float_denorm_mode_32 3
		.amdhsa_float_denorm_mode_16_64 3
		.amdhsa_fp16_overflow 0
		.amdhsa_memory_ordered 1
		.amdhsa_forward_progress 1
		.amdhsa_inst_pref_size 4
		.amdhsa_round_robin_scheduling 0
		.amdhsa_exception_fp_ieee_invalid_op 0
		.amdhsa_exception_fp_denorm_src 0
		.amdhsa_exception_fp_ieee_div_zero 0
		.amdhsa_exception_fp_ieee_overflow 0
		.amdhsa_exception_fp_ieee_underflow 0
		.amdhsa_exception_fp_ieee_inexact 0
		.amdhsa_exception_int_div_zero 0
	.end_amdhsa_kernel
	.section	.text._ZN9rocsolver6v33100L17check_singularityIfPKPfEEviT0_iilPi,"axG",@progbits,_ZN9rocsolver6v33100L17check_singularityIfPKPfEEviT0_iilPi,comdat
.Lfunc_end19:
	.size	_ZN9rocsolver6v33100L17check_singularityIfPKPfEEviT0_iilPi, .Lfunc_end19-_ZN9rocsolver6v33100L17check_singularityIfPKPfEEviT0_iilPi
                                        ; -- End function
	.set _ZN9rocsolver6v33100L17check_singularityIfPKPfEEviT0_iilPi.num_vgpr, 4
	.set _ZN9rocsolver6v33100L17check_singularityIfPKPfEEviT0_iilPi.num_agpr, 0
	.set _ZN9rocsolver6v33100L17check_singularityIfPKPfEEviT0_iilPi.numbered_sgpr, 16
	.set _ZN9rocsolver6v33100L17check_singularityIfPKPfEEviT0_iilPi.num_named_barrier, 0
	.set _ZN9rocsolver6v33100L17check_singularityIfPKPfEEviT0_iilPi.private_seg_size, 0
	.set _ZN9rocsolver6v33100L17check_singularityIfPKPfEEviT0_iilPi.uses_vcc, 1
	.set _ZN9rocsolver6v33100L17check_singularityIfPKPfEEviT0_iilPi.uses_flat_scratch, 0
	.set _ZN9rocsolver6v33100L17check_singularityIfPKPfEEviT0_iilPi.has_dyn_sized_stack, 0
	.set _ZN9rocsolver6v33100L17check_singularityIfPKPfEEviT0_iilPi.has_recursion, 0
	.set _ZN9rocsolver6v33100L17check_singularityIfPKPfEEviT0_iilPi.has_indirect_call, 0
	.section	.AMDGPU.csdata,"",@progbits
; Kernel info:
; codeLenInByte = 456
; TotalNumSgprs: 18
; NumVgprs: 4
; ScratchSize: 0
; MemoryBound: 0
; FloatMode: 240
; IeeeMode: 1
; LDSByteSize: 4 bytes/workgroup (compile time only)
; SGPRBlocks: 0
; VGPRBlocks: 0
; NumSGPRsForWavesPerEU: 18
; NumVGPRsForWavesPerEU: 4
; NamedBarCnt: 0
; Occupancy: 16
; WaveLimiterHint : 1
; COMPUTE_PGM_RSRC2:SCRATCH_EN: 0
; COMPUTE_PGM_RSRC2:USER_SGPR: 2
; COMPUTE_PGM_RSRC2:TRAP_HANDLER: 0
; COMPUTE_PGM_RSRC2:TGID_X_EN: 1
; COMPUTE_PGM_RSRC2:TGID_Y_EN: 0
; COMPUTE_PGM_RSRC2:TGID_Z_EN: 0
; COMPUTE_PGM_RSRC2:TIDIG_COMP_CNT: 1
	.section	.text._ZN9rocsolver6v33100L8copy_matIfPKPfNS0_9info_maskEEEvNS0_17copymat_directionEiiT0_iilPT_T1_13rocblas_fill_17rocblas_diagonal_,"axG",@progbits,_ZN9rocsolver6v33100L8copy_matIfPKPfNS0_9info_maskEEEvNS0_17copymat_directionEiiT0_iilPT_T1_13rocblas_fill_17rocblas_diagonal_,comdat
	.globl	_ZN9rocsolver6v33100L8copy_matIfPKPfNS0_9info_maskEEEvNS0_17copymat_directionEiiT0_iilPT_T1_13rocblas_fill_17rocblas_diagonal_ ; -- Begin function _ZN9rocsolver6v33100L8copy_matIfPKPfNS0_9info_maskEEEvNS0_17copymat_directionEiiT0_iilPT_T1_13rocblas_fill_17rocblas_diagonal_
	.p2align	8
	.type	_ZN9rocsolver6v33100L8copy_matIfPKPfNS0_9info_maskEEEvNS0_17copymat_directionEiiT0_iilPT_T1_13rocblas_fill_17rocblas_diagonal_,@function
_ZN9rocsolver6v33100L8copy_matIfPKPfNS0_9info_maskEEEvNS0_17copymat_directionEiiT0_iilPT_T1_13rocblas_fill_17rocblas_diagonal_: ; @_ZN9rocsolver6v33100L8copy_matIfPKPfNS0_9info_maskEEEvNS0_17copymat_directionEiiT0_iilPT_T1_13rocblas_fill_17rocblas_diagonal_
; %bb.0:
	s_clause 0x2
	s_load_b32 s2, s[0:1], 0x38
	s_load_b32 s3, s[0:1], 0x54
	s_load_b128 s[4:7], s[0:1], 0x28
	s_bfe_u32 s9, ttmp6, 0x4000c
	s_bfe_u32 s10, ttmp6, 0x40010
	;; [unrolled: 1-line block ×3, first 2 shown]
	s_add_co_i32 s9, s9, 1
	s_and_b32 s8, ttmp6, 15
	s_and_b32 s11, ttmp7, 0xffff
	s_lshr_b32 s13, ttmp7, 16
	s_add_co_i32 s10, s10, 1
	s_add_co_i32 s14, s14, 1
	s_mul_i32 s9, ttmp9, s9
	s_bfe_u32 s12, ttmp6, 0x40004
	s_mul_i32 s10, s11, s10
	s_mul_i32 s14, s13, s14
	s_add_co_i32 s15, s8, s9
	s_bfe_u32 s8, ttmp6, 0x40008
	s_getreg_b32 s9, hwreg(HW_REG_IB_STS2, 6, 4)
	s_add_co_i32 s16, s12, s10
	s_wait_kmcnt 0x0
	s_and_b32 s17, s2, 0xff
	s_lshr_b32 s2, s3, 16
	s_and_b32 s3, s3, 0xffff
	s_add_co_i32 s8, s8, s14
	s_cmp_eq_u32 s9, 0
	v_bfe_u32 v1, v0, 10, 10
	s_cselect_b32 s12, s13, s8
	s_load_b32 s13, s[6:7], s12 offset:0x0 scale_offset
	s_load_b96 s[8:10], s[0:1], 0x0
	v_and_b32_e32 v2, 0x3ff, v0
	s_wait_xcnt 0x0
	s_cselect_b32 s6, s11, s16
	s_cselect_b32 s7, ttmp9, s15
	v_mad_u32 v0, s6, s2, v1
	v_mad_u32 v1, s7, s3, v2
	s_wait_kmcnt 0x0
	s_cmp_lg_u32 s13, 0
	s_delay_alu instid0(VALU_DEP_1) | instskip(SKIP_1) | instid1(SALU_CYCLE_1)
	v_cmp_gt_u32_e32 vcc_lo, s9, v1
	s_cselect_b32 s2, -1, 0
	v_cndmask_b32_e64 v2, 0, 1, s2
	s_delay_alu instid0(VALU_DEP_4) | instskip(NEXT) | instid1(VALU_DEP_2)
	v_cmp_gt_u32_e64 s2, s10, v0
	v_readfirstlane_b32 s3, v2
	s_cmp_lg_u32 s17, s3
	s_cselect_b32 s3, -1, 0
	s_and_b32 s2, s2, vcc_lo
	s_delay_alu instid0(SALU_CYCLE_1) | instskip(NEXT) | instid1(SALU_CYCLE_1)
	s_and_b32 s2, s2, s3
	s_and_saveexec_b32 s3, s2
	s_cbranch_execz .LBB20_16
; %bb.1:
	s_load_b64 s[6:7], s[0:1], 0x40
	s_wait_kmcnt 0x0
	s_cmp_lt_i32 s6, 0x7a
	s_cbranch_scc1 .LBB20_4
; %bb.2:
	s_cmp_gt_i32 s6, 0x7a
	s_cbranch_scc0 .LBB20_5
; %bb.3:
	s_cmp_lg_u32 s6, 0x7b
	s_mov_b32 s3, -1
	s_cselect_b32 s11, -1, 0
	s_cbranch_execz .LBB20_6
	s_branch .LBB20_7
.LBB20_4:
	s_mov_b32 s11, 0
	s_mov_b32 s3, 0
	s_cbranch_execnz .LBB20_8
	s_branch .LBB20_10
.LBB20_5:
	s_mov_b32 s3, 0
	s_mov_b32 s11, 0
.LBB20_6:
	v_cmp_gt_u32_e32 vcc_lo, v1, v0
	v_cmp_le_u32_e64 s2, v1, v0
	s_and_not1_b32 s3, s3, exec_lo
	s_and_not1_b32 s11, s11, exec_lo
	s_and_b32 s13, vcc_lo, exec_lo
	s_and_b32 s2, s2, exec_lo
	s_or_b32 s3, s3, s13
	s_or_b32 s11, s11, s2
.LBB20_7:
	s_branch .LBB20_10
.LBB20_8:
	s_cmp_eq_u32 s6, 0x79
	s_mov_b32 s11, -1
	s_cbranch_scc0 .LBB20_10
; %bb.9:
	v_cmp_gt_u32_e32 vcc_lo, v0, v1
	v_cmp_le_u32_e64 s2, v0, v1
	s_and_not1_b32 s3, s3, exec_lo
	s_and_b32 s6, vcc_lo, exec_lo
	s_or_not1_b32 s11, s2, exec_lo
	s_or_b32 s3, s3, s6
.LBB20_10:
	s_and_saveexec_b32 s2, s11
; %bb.11:
	v_cmp_eq_u32_e32 vcc_lo, v1, v0
	s_cmp_eq_u32 s7, 0x83
	s_cselect_b32 s6, -1, 0
	s_and_not1_b32 s3, s3, exec_lo
	s_and_b32 s6, s6, vcc_lo
	s_delay_alu instid0(SALU_CYCLE_1) | instskip(NEXT) | instid1(SALU_CYCLE_1)
	s_and_b32 s6, s6, exec_lo
	s_or_b32 s3, s3, s6
; %bb.12:
	s_or_b32 exec_lo, exec_lo, s2
	s_delay_alu instid0(SALU_CYCLE_1)
	s_and_b32 exec_lo, exec_lo, s3
	s_cbranch_execz .LBB20_16
; %bb.13:
	s_load_b128 s[0:3], s[0:1], 0x10
	s_mov_b32 s6, s9
	s_ashr_i32 s7, s9, 31
	v_mad_u32 v2, v0, s6, v1
	s_mov_b32 s13, 0
	s_ashr_i32 s11, s10, 31
	s_mul_u64 s[6:7], s[6:7], s[12:13]
	s_delay_alu instid0(SALU_CYCLE_1) | instskip(NEXT) | instid1(SALU_CYCLE_1)
	s_mul_u64 s[6:7], s[6:7], s[10:11]
	s_lshl_b64 s[6:7], s[6:7], 2
	s_wait_kmcnt 0x0
	s_load_b64 s[0:1], s[0:1], s12 offset:0x0 scale_offset
	v_mad_u32 v0, v0, s3, v1
	s_ashr_i32 s3, s2, 31
	s_delay_alu instid0(SALU_CYCLE_1)
	s_lshl_b64 s[2:3], s[2:3], 2
	s_cmp_lg_u32 s8, 0
	s_wait_kmcnt 0x0
	s_add_nc_u64 s[0:1], s[0:1], s[2:3]
	s_add_nc_u64 s[2:3], s[4:5], s[6:7]
	s_cbranch_scc0 .LBB20_17
; %bb.14:
	global_load_b32 v1, v2, s[2:3] scale_offset
	s_wait_loadcnt 0x0
	flat_store_b32 v0, v1, s[0:1] scale_offset
	s_and_not1_b32 vcc_lo, exec_lo, s13
	s_cbranch_vccnz .LBB20_16
.LBB20_15:
	flat_load_b32 v0, v0, s[0:1] scale_offset
	s_wait_loadcnt_dscnt 0x0
	global_store_b32 v2, v0, s[2:3] scale_offset
.LBB20_16:
	s_endpgm
.LBB20_17:
	s_branch .LBB20_15
	.section	.rodata,"a",@progbits
	.p2align	6, 0x0
	.amdhsa_kernel _ZN9rocsolver6v33100L8copy_matIfPKPfNS0_9info_maskEEEvNS0_17copymat_directionEiiT0_iilPT_T1_13rocblas_fill_17rocblas_diagonal_
		.amdhsa_group_segment_fixed_size 0
		.amdhsa_private_segment_fixed_size 0
		.amdhsa_kernarg_size 328
		.amdhsa_user_sgpr_count 2
		.amdhsa_user_sgpr_dispatch_ptr 0
		.amdhsa_user_sgpr_queue_ptr 0
		.amdhsa_user_sgpr_kernarg_segment_ptr 1
		.amdhsa_user_sgpr_dispatch_id 0
		.amdhsa_user_sgpr_kernarg_preload_length 0
		.amdhsa_user_sgpr_kernarg_preload_offset 0
		.amdhsa_user_sgpr_private_segment_size 0
		.amdhsa_wavefront_size32 1
		.amdhsa_uses_dynamic_stack 0
		.amdhsa_enable_private_segment 0
		.amdhsa_system_sgpr_workgroup_id_x 1
		.amdhsa_system_sgpr_workgroup_id_y 1
		.amdhsa_system_sgpr_workgroup_id_z 1
		.amdhsa_system_sgpr_workgroup_info 0
		.amdhsa_system_vgpr_workitem_id 1
		.amdhsa_next_free_vgpr 3
		.amdhsa_next_free_sgpr 18
		.amdhsa_named_barrier_count 0
		.amdhsa_reserve_vcc 1
		.amdhsa_float_round_mode_32 0
		.amdhsa_float_round_mode_16_64 0
		.amdhsa_float_denorm_mode_32 3
		.amdhsa_float_denorm_mode_16_64 3
		.amdhsa_fp16_overflow 0
		.amdhsa_memory_ordered 1
		.amdhsa_forward_progress 1
		.amdhsa_inst_pref_size 6
		.amdhsa_round_robin_scheduling 0
		.amdhsa_exception_fp_ieee_invalid_op 0
		.amdhsa_exception_fp_denorm_src 0
		.amdhsa_exception_fp_ieee_div_zero 0
		.amdhsa_exception_fp_ieee_overflow 0
		.amdhsa_exception_fp_ieee_underflow 0
		.amdhsa_exception_fp_ieee_inexact 0
		.amdhsa_exception_int_div_zero 0
	.end_amdhsa_kernel
	.section	.text._ZN9rocsolver6v33100L8copy_matIfPKPfNS0_9info_maskEEEvNS0_17copymat_directionEiiT0_iilPT_T1_13rocblas_fill_17rocblas_diagonal_,"axG",@progbits,_ZN9rocsolver6v33100L8copy_matIfPKPfNS0_9info_maskEEEvNS0_17copymat_directionEiiT0_iilPT_T1_13rocblas_fill_17rocblas_diagonal_,comdat
.Lfunc_end20:
	.size	_ZN9rocsolver6v33100L8copy_matIfPKPfNS0_9info_maskEEEvNS0_17copymat_directionEiiT0_iilPT_T1_13rocblas_fill_17rocblas_diagonal_, .Lfunc_end20-_ZN9rocsolver6v33100L8copy_matIfPKPfNS0_9info_maskEEEvNS0_17copymat_directionEiiT0_iilPT_T1_13rocblas_fill_17rocblas_diagonal_
                                        ; -- End function
	.set _ZN9rocsolver6v33100L8copy_matIfPKPfNS0_9info_maskEEEvNS0_17copymat_directionEiiT0_iilPT_T1_13rocblas_fill_17rocblas_diagonal_.num_vgpr, 3
	.set _ZN9rocsolver6v33100L8copy_matIfPKPfNS0_9info_maskEEEvNS0_17copymat_directionEiiT0_iilPT_T1_13rocblas_fill_17rocblas_diagonal_.num_agpr, 0
	.set _ZN9rocsolver6v33100L8copy_matIfPKPfNS0_9info_maskEEEvNS0_17copymat_directionEiiT0_iilPT_T1_13rocblas_fill_17rocblas_diagonal_.numbered_sgpr, 18
	.set _ZN9rocsolver6v33100L8copy_matIfPKPfNS0_9info_maskEEEvNS0_17copymat_directionEiiT0_iilPT_T1_13rocblas_fill_17rocblas_diagonal_.num_named_barrier, 0
	.set _ZN9rocsolver6v33100L8copy_matIfPKPfNS0_9info_maskEEEvNS0_17copymat_directionEiiT0_iilPT_T1_13rocblas_fill_17rocblas_diagonal_.private_seg_size, 0
	.set _ZN9rocsolver6v33100L8copy_matIfPKPfNS0_9info_maskEEEvNS0_17copymat_directionEiiT0_iilPT_T1_13rocblas_fill_17rocblas_diagonal_.uses_vcc, 1
	.set _ZN9rocsolver6v33100L8copy_matIfPKPfNS0_9info_maskEEEvNS0_17copymat_directionEiiT0_iilPT_T1_13rocblas_fill_17rocblas_diagonal_.uses_flat_scratch, 0
	.set _ZN9rocsolver6v33100L8copy_matIfPKPfNS0_9info_maskEEEvNS0_17copymat_directionEiiT0_iilPT_T1_13rocblas_fill_17rocblas_diagonal_.has_dyn_sized_stack, 0
	.set _ZN9rocsolver6v33100L8copy_matIfPKPfNS0_9info_maskEEEvNS0_17copymat_directionEiiT0_iilPT_T1_13rocblas_fill_17rocblas_diagonal_.has_recursion, 0
	.set _ZN9rocsolver6v33100L8copy_matIfPKPfNS0_9info_maskEEEvNS0_17copymat_directionEiiT0_iilPT_T1_13rocblas_fill_17rocblas_diagonal_.has_indirect_call, 0
	.section	.AMDGPU.csdata,"",@progbits
; Kernel info:
; codeLenInByte = 684
; TotalNumSgprs: 20
; NumVgprs: 3
; ScratchSize: 0
; MemoryBound: 0
; FloatMode: 240
; IeeeMode: 1
; LDSByteSize: 0 bytes/workgroup (compile time only)
; SGPRBlocks: 0
; VGPRBlocks: 0
; NumSGPRsForWavesPerEU: 20
; NumVGPRsForWavesPerEU: 3
; NamedBarCnt: 0
; Occupancy: 16
; WaveLimiterHint : 1
; COMPUTE_PGM_RSRC2:SCRATCH_EN: 0
; COMPUTE_PGM_RSRC2:USER_SGPR: 2
; COMPUTE_PGM_RSRC2:TRAP_HANDLER: 0
; COMPUTE_PGM_RSRC2:TGID_X_EN: 1
; COMPUTE_PGM_RSRC2:TGID_Y_EN: 1
; COMPUTE_PGM_RSRC2:TGID_Z_EN: 1
; COMPUTE_PGM_RSRC2:TIDIG_COMP_CNT: 1
	.section	.text._ZN9rocsolver6v33100L13gels_set_zeroIfPKPfEEviiiT0_iilPKi,"axG",@progbits,_ZN9rocsolver6v33100L13gels_set_zeroIfPKPfEEviiiT0_iilPKi,comdat
	.globl	_ZN9rocsolver6v33100L13gels_set_zeroIfPKPfEEviiiT0_iilPKi ; -- Begin function _ZN9rocsolver6v33100L13gels_set_zeroIfPKPfEEviiiT0_iilPKi
	.p2align	8
	.type	_ZN9rocsolver6v33100L13gels_set_zeroIfPKPfEEviiiT0_iilPKi,@function
_ZN9rocsolver6v33100L13gels_set_zeroIfPKPfEEviiiT0_iilPKi: ; @_ZN9rocsolver6v33100L13gels_set_zeroIfPKPfEEviiiT0_iilPKi
; %bb.0:
	s_clause 0x1
	s_load_b32 s2, s[0:1], 0x3c
	s_load_b96 s[4:6], s[0:1], 0x0
	s_bfe_u32 s8, ttmp6, 0x4000c
	s_bfe_u32 s10, ttmp6, 0x40010
	s_and_b32 s9, ttmp7, 0xffff
	s_add_co_i32 s8, s8, 1
	s_add_co_i32 s10, s10, 1
	s_and_b32 s7, ttmp6, 15
	s_bfe_u32 s11, ttmp6, 0x40004
	s_mul_i32 s8, ttmp9, s8
	s_mul_i32 s10, s9, s10
	s_getreg_b32 s3, hwreg(HW_REG_IB_STS2, 6, 4)
	v_bfe_u32 v2, v0, 10, 10
	v_and_b32_e32 v0, 0x3ff, v0
	s_add_co_i32 s7, s7, s8
	s_add_co_i32 s11, s11, s10
	s_wait_kmcnt 0x0
	s_lshr_b32 s8, s2, 16
	s_and_b32 s2, s2, 0xffff
	s_cmp_eq_u32 s3, 0
	s_cselect_b32 s7, ttmp9, s7
	s_cselect_b32 s9, s9, s11
	v_mad_u32 v1, s7, s2, v0
	v_mad_u32 v0, s9, s8, v2
	s_sub_co_i32 s2, s5, s4
	s_delay_alu instid0(VALU_DEP_2) | instid1(SALU_CYCLE_1)
	v_cmp_gt_u32_e32 vcc_lo, s2, v1
	s_delay_alu instid0(VALU_DEP_2) | instskip(SKIP_1) | instid1(SALU_CYCLE_1)
	v_cmp_gt_u32_e64 s2, s6, v0
	s_and_b32 s2, s2, vcc_lo
	s_and_saveexec_b32 s5, s2
	s_cbranch_execz .LBB21_2
; %bb.1:
	s_load_b64 s[6:7], s[0:1], 0x28
	s_bfe_u32 s2, ttmp6, 0x40014
	s_lshr_b32 s5, ttmp7, 16
	s_add_co_i32 s2, s2, 1
	s_bfe_u32 s8, ttmp6, 0x40008
	s_mul_i32 s2, s5, s2
	s_delay_alu instid0(SALU_CYCLE_1)
	s_add_co_i32 s8, s8, s2
	s_cmp_eq_u32 s3, 0
	s_cselect_b32 s2, s5, s8
	s_wait_kmcnt 0x0
	s_load_b32 s3, s[6:7], s2 offset:0x0 scale_offset
	s_wait_kmcnt 0x0
	s_cmp_lg_u32 s3, 0
	s_cbranch_scc0 .LBB21_3
.LBB21_2:
	s_endpgm
.LBB21_3:
	s_load_b128 s[8:11], s[0:1], 0x10
	v_add_nc_u32_e32 v1, s4, v1
	s_wait_kmcnt 0x0
	s_load_b64 s[0:1], s[8:9], s2 offset:0x0 scale_offset
	s_delay_alu instid0(VALU_DEP_1)
	v_mad_u32 v0, v0, s11, v1
	s_ashr_i32 s3, s10, 31
	s_wait_xcnt 0x0
	s_mov_b32 s2, s10
	v_mov_b32_e32 v1, 0
	s_lshl_b64 s[2:3], s[2:3], 2
	s_wait_kmcnt 0x0
	s_add_nc_u64 s[0:1], s[0:1], s[2:3]
	flat_store_b32 v0, v1, s[0:1] scale_offset
	s_endpgm
	.section	.rodata,"a",@progbits
	.p2align	6, 0x0
	.amdhsa_kernel _ZN9rocsolver6v33100L13gels_set_zeroIfPKPfEEviiiT0_iilPKi
		.amdhsa_group_segment_fixed_size 0
		.amdhsa_private_segment_fixed_size 0
		.amdhsa_kernarg_size 304
		.amdhsa_user_sgpr_count 2
		.amdhsa_user_sgpr_dispatch_ptr 0
		.amdhsa_user_sgpr_queue_ptr 0
		.amdhsa_user_sgpr_kernarg_segment_ptr 1
		.amdhsa_user_sgpr_dispatch_id 0
		.amdhsa_user_sgpr_kernarg_preload_length 0
		.amdhsa_user_sgpr_kernarg_preload_offset 0
		.amdhsa_user_sgpr_private_segment_size 0
		.amdhsa_wavefront_size32 1
		.amdhsa_uses_dynamic_stack 0
		.amdhsa_enable_private_segment 0
		.amdhsa_system_sgpr_workgroup_id_x 1
		.amdhsa_system_sgpr_workgroup_id_y 1
		.amdhsa_system_sgpr_workgroup_id_z 1
		.amdhsa_system_sgpr_workgroup_info 0
		.amdhsa_system_vgpr_workitem_id 1
		.amdhsa_next_free_vgpr 3
		.amdhsa_next_free_sgpr 12
		.amdhsa_named_barrier_count 0
		.amdhsa_reserve_vcc 1
		.amdhsa_float_round_mode_32 0
		.amdhsa_float_round_mode_16_64 0
		.amdhsa_float_denorm_mode_32 3
		.amdhsa_float_denorm_mode_16_64 3
		.amdhsa_fp16_overflow 0
		.amdhsa_memory_ordered 1
		.amdhsa_forward_progress 1
		.amdhsa_inst_pref_size 3
		.amdhsa_round_robin_scheduling 0
		.amdhsa_exception_fp_ieee_invalid_op 0
		.amdhsa_exception_fp_denorm_src 0
		.amdhsa_exception_fp_ieee_div_zero 0
		.amdhsa_exception_fp_ieee_overflow 0
		.amdhsa_exception_fp_ieee_underflow 0
		.amdhsa_exception_fp_ieee_inexact 0
		.amdhsa_exception_int_div_zero 0
	.end_amdhsa_kernel
	.section	.text._ZN9rocsolver6v33100L13gels_set_zeroIfPKPfEEviiiT0_iilPKi,"axG",@progbits,_ZN9rocsolver6v33100L13gels_set_zeroIfPKPfEEviiiT0_iilPKi,comdat
.Lfunc_end21:
	.size	_ZN9rocsolver6v33100L13gels_set_zeroIfPKPfEEviiiT0_iilPKi, .Lfunc_end21-_ZN9rocsolver6v33100L13gels_set_zeroIfPKPfEEviiiT0_iilPKi
                                        ; -- End function
	.set _ZN9rocsolver6v33100L13gels_set_zeroIfPKPfEEviiiT0_iilPKi.num_vgpr, 3
	.set _ZN9rocsolver6v33100L13gels_set_zeroIfPKPfEEviiiT0_iilPKi.num_agpr, 0
	.set _ZN9rocsolver6v33100L13gels_set_zeroIfPKPfEEviiiT0_iilPKi.numbered_sgpr, 12
	.set _ZN9rocsolver6v33100L13gels_set_zeroIfPKPfEEviiiT0_iilPKi.num_named_barrier, 0
	.set _ZN9rocsolver6v33100L13gels_set_zeroIfPKPfEEviiiT0_iilPKi.private_seg_size, 0
	.set _ZN9rocsolver6v33100L13gels_set_zeroIfPKPfEEviiiT0_iilPKi.uses_vcc, 1
	.set _ZN9rocsolver6v33100L13gels_set_zeroIfPKPfEEviiiT0_iilPKi.uses_flat_scratch, 0
	.set _ZN9rocsolver6v33100L13gels_set_zeroIfPKPfEEviiiT0_iilPKi.has_dyn_sized_stack, 0
	.set _ZN9rocsolver6v33100L13gels_set_zeroIfPKPfEEviiiT0_iilPKi.has_recursion, 0
	.set _ZN9rocsolver6v33100L13gels_set_zeroIfPKPfEEviiiT0_iilPKi.has_indirect_call, 0
	.section	.AMDGPU.csdata,"",@progbits
; Kernel info:
; codeLenInByte = 340
; TotalNumSgprs: 14
; NumVgprs: 3
; ScratchSize: 0
; MemoryBound: 0
; FloatMode: 240
; IeeeMode: 1
; LDSByteSize: 0 bytes/workgroup (compile time only)
; SGPRBlocks: 0
; VGPRBlocks: 0
; NumSGPRsForWavesPerEU: 14
; NumVGPRsForWavesPerEU: 3
; NamedBarCnt: 0
; Occupancy: 16
; WaveLimiterHint : 1
; COMPUTE_PGM_RSRC2:SCRATCH_EN: 0
; COMPUTE_PGM_RSRC2:USER_SGPR: 2
; COMPUTE_PGM_RSRC2:TRAP_HANDLER: 0
; COMPUTE_PGM_RSRC2:TGID_X_EN: 1
; COMPUTE_PGM_RSRC2:TGID_Y_EN: 1
; COMPUTE_PGM_RSRC2:TGID_Z_EN: 1
; COMPUTE_PGM_RSRC2:TIDIG_COMP_CNT: 1
	.section	.text._ZN9rocsolver6v33100L6iota_nIdEEvPT_jS2_,"axG",@progbits,_ZN9rocsolver6v33100L6iota_nIdEEvPT_jS2_,comdat
	.globl	_ZN9rocsolver6v33100L6iota_nIdEEvPT_jS2_ ; -- Begin function _ZN9rocsolver6v33100L6iota_nIdEEvPT_jS2_
	.p2align	8
	.type	_ZN9rocsolver6v33100L6iota_nIdEEvPT_jS2_,@function
_ZN9rocsolver6v33100L6iota_nIdEEvPT_jS2_: ; @_ZN9rocsolver6v33100L6iota_nIdEEvPT_jS2_
; %bb.0:
	s_load_b32 s2, s[0:1], 0x8
	s_wait_kmcnt 0x0
	v_cmp_gt_u32_e32 vcc_lo, s2, v0
	s_and_saveexec_b32 s2, vcc_lo
	s_cbranch_execz .LBB22_2
; %bb.1:
	v_cvt_f64_u32_e32 v[2:3], v0
	s_load_b64 s[2:3], s[0:1], 0x10
	s_wait_kmcnt 0x0
	s_delay_alu instid0(VALU_DEP_1)
	v_add_f64_e32 v[2:3], s[2:3], v[2:3]
	s_load_b64 s[0:1], s[0:1], 0x0
	s_wait_kmcnt 0x0
	global_store_b64 v0, v[2:3], s[0:1] scale_offset
.LBB22_2:
	s_endpgm
	.section	.rodata,"a",@progbits
	.p2align	6, 0x0
	.amdhsa_kernel _ZN9rocsolver6v33100L6iota_nIdEEvPT_jS2_
		.amdhsa_group_segment_fixed_size 0
		.amdhsa_private_segment_fixed_size 0
		.amdhsa_kernarg_size 24
		.amdhsa_user_sgpr_count 2
		.amdhsa_user_sgpr_dispatch_ptr 0
		.amdhsa_user_sgpr_queue_ptr 0
		.amdhsa_user_sgpr_kernarg_segment_ptr 1
		.amdhsa_user_sgpr_dispatch_id 0
		.amdhsa_user_sgpr_kernarg_preload_length 0
		.amdhsa_user_sgpr_kernarg_preload_offset 0
		.amdhsa_user_sgpr_private_segment_size 0
		.amdhsa_wavefront_size32 1
		.amdhsa_uses_dynamic_stack 0
		.amdhsa_enable_private_segment 0
		.amdhsa_system_sgpr_workgroup_id_x 1
		.amdhsa_system_sgpr_workgroup_id_y 0
		.amdhsa_system_sgpr_workgroup_id_z 0
		.amdhsa_system_sgpr_workgroup_info 0
		.amdhsa_system_vgpr_workitem_id 0
		.amdhsa_next_free_vgpr 4
		.amdhsa_next_free_sgpr 4
		.amdhsa_named_barrier_count 0
		.amdhsa_reserve_vcc 1
		.amdhsa_float_round_mode_32 0
		.amdhsa_float_round_mode_16_64 0
		.amdhsa_float_denorm_mode_32 3
		.amdhsa_float_denorm_mode_16_64 3
		.amdhsa_fp16_overflow 0
		.amdhsa_memory_ordered 1
		.amdhsa_forward_progress 1
		.amdhsa_inst_pref_size 1
		.amdhsa_round_robin_scheduling 0
		.amdhsa_exception_fp_ieee_invalid_op 0
		.amdhsa_exception_fp_denorm_src 0
		.amdhsa_exception_fp_ieee_div_zero 0
		.amdhsa_exception_fp_ieee_overflow 0
		.amdhsa_exception_fp_ieee_underflow 0
		.amdhsa_exception_fp_ieee_inexact 0
		.amdhsa_exception_int_div_zero 0
	.end_amdhsa_kernel
	.section	.text._ZN9rocsolver6v33100L6iota_nIdEEvPT_jS2_,"axG",@progbits,_ZN9rocsolver6v33100L6iota_nIdEEvPT_jS2_,comdat
.Lfunc_end22:
	.size	_ZN9rocsolver6v33100L6iota_nIdEEvPT_jS2_, .Lfunc_end22-_ZN9rocsolver6v33100L6iota_nIdEEvPT_jS2_
                                        ; -- End function
	.set _ZN9rocsolver6v33100L6iota_nIdEEvPT_jS2_.num_vgpr, 4
	.set _ZN9rocsolver6v33100L6iota_nIdEEvPT_jS2_.num_agpr, 0
	.set _ZN9rocsolver6v33100L6iota_nIdEEvPT_jS2_.numbered_sgpr, 4
	.set _ZN9rocsolver6v33100L6iota_nIdEEvPT_jS2_.num_named_barrier, 0
	.set _ZN9rocsolver6v33100L6iota_nIdEEvPT_jS2_.private_seg_size, 0
	.set _ZN9rocsolver6v33100L6iota_nIdEEvPT_jS2_.uses_vcc, 1
	.set _ZN9rocsolver6v33100L6iota_nIdEEvPT_jS2_.uses_flat_scratch, 0
	.set _ZN9rocsolver6v33100L6iota_nIdEEvPT_jS2_.has_dyn_sized_stack, 0
	.set _ZN9rocsolver6v33100L6iota_nIdEEvPT_jS2_.has_recursion, 0
	.set _ZN9rocsolver6v33100L6iota_nIdEEvPT_jS2_.has_indirect_call, 0
	.section	.AMDGPU.csdata,"",@progbits
; Kernel info:
; codeLenInByte = 76
; TotalNumSgprs: 6
; NumVgprs: 4
; ScratchSize: 0
; MemoryBound: 0
; FloatMode: 240
; IeeeMode: 1
; LDSByteSize: 0 bytes/workgroup (compile time only)
; SGPRBlocks: 0
; VGPRBlocks: 0
; NumSGPRsForWavesPerEU: 6
; NumVGPRsForWavesPerEU: 4
; NamedBarCnt: 0
; Occupancy: 16
; WaveLimiterHint : 0
; COMPUTE_PGM_RSRC2:SCRATCH_EN: 0
; COMPUTE_PGM_RSRC2:USER_SGPR: 2
; COMPUTE_PGM_RSRC2:TRAP_HANDLER: 0
; COMPUTE_PGM_RSRC2:TGID_X_EN: 1
; COMPUTE_PGM_RSRC2:TGID_Y_EN: 0
; COMPUTE_PGM_RSRC2:TGID_Z_EN: 0
; COMPUTE_PGM_RSRC2:TIDIG_COMP_CNT: 0
	.section	.text._ZN9rocsolver6v33100L8set_zeroIdPKPdEEviiT0_iil13rocblas_fill_,"axG",@progbits,_ZN9rocsolver6v33100L8set_zeroIdPKPdEEviiT0_iil13rocblas_fill_,comdat
	.globl	_ZN9rocsolver6v33100L8set_zeroIdPKPdEEviiT0_iil13rocblas_fill_ ; -- Begin function _ZN9rocsolver6v33100L8set_zeroIdPKPdEEviiT0_iil13rocblas_fill_
	.p2align	8
	.type	_ZN9rocsolver6v33100L8set_zeroIdPKPdEEviiT0_iil13rocblas_fill_,@function
_ZN9rocsolver6v33100L8set_zeroIdPKPdEEviiT0_iil13rocblas_fill_: ; @_ZN9rocsolver6v33100L8set_zeroIdPKPdEEviiT0_iil13rocblas_fill_
; %bb.0:
	s_clause 0x1
	s_load_b32 s2, s[0:1], 0x34
	s_load_b64 s[4:5], s[0:1], 0x0
	s_bfe_u32 s7, ttmp6, 0x40010
	s_bfe_u32 s10, ttmp6, 0x4000c
	s_and_b32 s6, ttmp7, 0xffff
	s_add_co_i32 s7, s7, 1
	s_add_co_i32 s10, s10, 1
	s_bfe_u32 s8, ttmp6, 0x40004
	s_and_b32 s9, ttmp6, 15
	s_mul_i32 s7, s6, s7
	s_mul_i32 s10, ttmp9, s10
	s_getreg_b32 s3, hwreg(HW_REG_IB_STS2, 6, 4)
	v_and_b32_e32 v1, 0x3ff, v0
	v_bfe_u32 v2, v0, 10, 10
	s_add_co_i32 s8, s8, s7
	s_add_co_i32 s9, s9, s10
	s_wait_kmcnt 0x0
	s_lshr_b32 s7, s2, 16
	s_and_b32 s2, s2, 0xffff
	s_cmp_eq_u32 s3, 0
	s_cselect_b32 s9, ttmp9, s9
	s_cselect_b32 s6, s6, s8
	v_mad_u32 v0, s9, s2, v1
	v_mad_u32 v1, s6, s7, v2
	s_delay_alu instid0(VALU_DEP_2) | instskip(NEXT) | instid1(VALU_DEP_2)
	v_cmp_gt_u32_e32 vcc_lo, s4, v0
	v_cmp_gt_u32_e64 s2, s5, v1
	s_and_b32 s2, vcc_lo, s2
	s_delay_alu instid0(SALU_CYCLE_1)
	s_and_saveexec_b32 s4, s2
	s_cbranch_execz .LBB23_12
; %bb.1:
	s_load_b32 s4, s[0:1], 0x20
	s_wait_kmcnt 0x0
	s_cmp_lt_i32 s4, 0x7a
	s_cbranch_scc1 .LBB23_4
; %bb.2:
	s_cmp_gt_i32 s4, 0x7a
	s_cbranch_scc0 .LBB23_5
; %bb.3:
	s_cmp_eq_u32 s4, 0x7b
	s_cselect_b32 s2, -1, 0
	s_cbranch_execz .LBB23_6
	s_branch .LBB23_7
.LBB23_4:
	s_mov_b32 s2, 0
	s_cbranch_execnz .LBB23_8
	s_branch .LBB23_10
.LBB23_5:
	s_mov_b32 s2, 0
.LBB23_6:
	v_cmp_gt_u32_e32 vcc_lo, v1, v0
	s_and_not1_b32 s2, s2, exec_lo
	s_and_b32 s5, vcc_lo, exec_lo
	s_delay_alu instid0(SALU_CYCLE_1)
	s_or_b32 s2, s2, s5
.LBB23_7:
	s_branch .LBB23_10
.LBB23_8:
	s_cmp_eq_u32 s4, 0x79
	s_cbranch_scc0 .LBB23_10
; %bb.9:
	v_cmp_gt_u32_e32 vcc_lo, v0, v1
	s_and_not1_b32 s2, s2, exec_lo
	s_and_b32 s4, vcc_lo, exec_lo
	s_delay_alu instid0(SALU_CYCLE_1)
	s_or_b32 s2, s2, s4
.LBB23_10:
	s_delay_alu instid0(SALU_CYCLE_1)
	s_and_b32 exec_lo, exec_lo, s2
	s_cbranch_execz .LBB23_12
; %bb.11:
	s_load_b128 s[4:7], s[0:1], 0x8
	s_wait_xcnt 0x0
	s_bfe_u32 s0, ttmp6, 0x40014
	s_lshr_b32 s2, ttmp7, 16
	s_add_co_i32 s0, s0, 1
	s_bfe_u32 s8, ttmp6, 0x40008
	s_mul_i32 s0, s2, s0
	s_delay_alu instid0(SALU_CYCLE_1)
	s_add_co_i32 s8, s8, s0
	s_wait_kmcnt 0x0
	s_ashr_i32 s1, s6, 31
	s_cmp_eq_u32 s3, 0
	v_mad_u32 v2, v1, s7, v0
	s_cselect_b32 s0, s2, s8
	v_mov_b64_e32 v[0:1], 0
	s_load_b64 s[2:3], s[4:5], s0 offset:0x0 scale_offset
	s_wait_xcnt 0x0
	s_mov_b32 s0, s6
	s_delay_alu instid0(SALU_CYCLE_1)
	s_lshl_b64 s[0:1], s[0:1], 3
	s_wait_kmcnt 0x0
	s_add_nc_u64 s[0:1], s[2:3], s[0:1]
	flat_store_b64 v2, v[0:1], s[0:1] scale_offset
.LBB23_12:
	s_endpgm
	.section	.rodata,"a",@progbits
	.p2align	6, 0x0
	.amdhsa_kernel _ZN9rocsolver6v33100L8set_zeroIdPKPdEEviiT0_iil13rocblas_fill_
		.amdhsa_group_segment_fixed_size 0
		.amdhsa_private_segment_fixed_size 0
		.amdhsa_kernarg_size 296
		.amdhsa_user_sgpr_count 2
		.amdhsa_user_sgpr_dispatch_ptr 0
		.amdhsa_user_sgpr_queue_ptr 0
		.amdhsa_user_sgpr_kernarg_segment_ptr 1
		.amdhsa_user_sgpr_dispatch_id 0
		.amdhsa_user_sgpr_kernarg_preload_length 0
		.amdhsa_user_sgpr_kernarg_preload_offset 0
		.amdhsa_user_sgpr_private_segment_size 0
		.amdhsa_wavefront_size32 1
		.amdhsa_uses_dynamic_stack 0
		.amdhsa_enable_private_segment 0
		.amdhsa_system_sgpr_workgroup_id_x 1
		.amdhsa_system_sgpr_workgroup_id_y 1
		.amdhsa_system_sgpr_workgroup_id_z 1
		.amdhsa_system_sgpr_workgroup_info 0
		.amdhsa_system_vgpr_workitem_id 1
		.amdhsa_next_free_vgpr 3
		.amdhsa_next_free_sgpr 11
		.amdhsa_named_barrier_count 0
		.amdhsa_reserve_vcc 1
		.amdhsa_float_round_mode_32 0
		.amdhsa_float_round_mode_16_64 0
		.amdhsa_float_denorm_mode_32 3
		.amdhsa_float_denorm_mode_16_64 3
		.amdhsa_fp16_overflow 0
		.amdhsa_memory_ordered 1
		.amdhsa_forward_progress 1
		.amdhsa_inst_pref_size 4
		.amdhsa_round_robin_scheduling 0
		.amdhsa_exception_fp_ieee_invalid_op 0
		.amdhsa_exception_fp_denorm_src 0
		.amdhsa_exception_fp_ieee_div_zero 0
		.amdhsa_exception_fp_ieee_overflow 0
		.amdhsa_exception_fp_ieee_underflow 0
		.amdhsa_exception_fp_ieee_inexact 0
		.amdhsa_exception_int_div_zero 0
	.end_amdhsa_kernel
	.section	.text._ZN9rocsolver6v33100L8set_zeroIdPKPdEEviiT0_iil13rocblas_fill_,"axG",@progbits,_ZN9rocsolver6v33100L8set_zeroIdPKPdEEviiT0_iil13rocblas_fill_,comdat
.Lfunc_end23:
	.size	_ZN9rocsolver6v33100L8set_zeroIdPKPdEEviiT0_iil13rocblas_fill_, .Lfunc_end23-_ZN9rocsolver6v33100L8set_zeroIdPKPdEEviiT0_iil13rocblas_fill_
                                        ; -- End function
	.set _ZN9rocsolver6v33100L8set_zeroIdPKPdEEviiT0_iil13rocblas_fill_.num_vgpr, 3
	.set _ZN9rocsolver6v33100L8set_zeroIdPKPdEEviiT0_iil13rocblas_fill_.num_agpr, 0
	.set _ZN9rocsolver6v33100L8set_zeroIdPKPdEEviiT0_iil13rocblas_fill_.numbered_sgpr, 11
	.set _ZN9rocsolver6v33100L8set_zeroIdPKPdEEviiT0_iil13rocblas_fill_.num_named_barrier, 0
	.set _ZN9rocsolver6v33100L8set_zeroIdPKPdEEviiT0_iil13rocblas_fill_.private_seg_size, 0
	.set _ZN9rocsolver6v33100L8set_zeroIdPKPdEEviiT0_iil13rocblas_fill_.uses_vcc, 1
	.set _ZN9rocsolver6v33100L8set_zeroIdPKPdEEviiT0_iil13rocblas_fill_.uses_flat_scratch, 0
	.set _ZN9rocsolver6v33100L8set_zeroIdPKPdEEviiT0_iil13rocblas_fill_.has_dyn_sized_stack, 0
	.set _ZN9rocsolver6v33100L8set_zeroIdPKPdEEviiT0_iil13rocblas_fill_.has_recursion, 0
	.set _ZN9rocsolver6v33100L8set_zeroIdPKPdEEviiT0_iil13rocblas_fill_.has_indirect_call, 0
	.section	.AMDGPU.csdata,"",@progbits
; Kernel info:
; codeLenInByte = 440
; TotalNumSgprs: 13
; NumVgprs: 3
; ScratchSize: 0
; MemoryBound: 0
; FloatMode: 240
; IeeeMode: 1
; LDSByteSize: 0 bytes/workgroup (compile time only)
; SGPRBlocks: 0
; VGPRBlocks: 0
; NumSGPRsForWavesPerEU: 13
; NumVGPRsForWavesPerEU: 3
; NamedBarCnt: 0
; Occupancy: 16
; WaveLimiterHint : 1
; COMPUTE_PGM_RSRC2:SCRATCH_EN: 0
; COMPUTE_PGM_RSRC2:USER_SGPR: 2
; COMPUTE_PGM_RSRC2:TRAP_HANDLER: 0
; COMPUTE_PGM_RSRC2:TGID_X_EN: 1
; COMPUTE_PGM_RSRC2:TGID_Y_EN: 1
; COMPUTE_PGM_RSRC2:TGID_Z_EN: 1
; COMPUTE_PGM_RSRC2:TIDIG_COMP_CNT: 1
	.section	.text._ZN9rocsolver6v33100L18geqr2_kernel_smallILi256EdidPKPdEEvT1_S5_T3_lS5_lPT2_lPT0_l,"axG",@progbits,_ZN9rocsolver6v33100L18geqr2_kernel_smallILi256EdidPKPdEEvT1_S5_T3_lS5_lPT2_lPT0_l,comdat
	.globl	_ZN9rocsolver6v33100L18geqr2_kernel_smallILi256EdidPKPdEEvT1_S5_T3_lS5_lPT2_lPT0_l ; -- Begin function _ZN9rocsolver6v33100L18geqr2_kernel_smallILi256EdidPKPdEEvT1_S5_T3_lS5_lPT2_lPT0_l
	.p2align	8
	.type	_ZN9rocsolver6v33100L18geqr2_kernel_smallILi256EdidPKPdEEvT1_S5_T3_lS5_lPT2_lPT0_l,@function
_ZN9rocsolver6v33100L18geqr2_kernel_smallILi256EdidPKPdEEvT1_S5_T3_lS5_lPT2_lPT0_l: ; @_ZN9rocsolver6v33100L18geqr2_kernel_smallILi256EdidPKPdEEvT1_S5_T3_lS5_lPT2_lPT0_l
; %bb.0:
	s_clause 0x1
	s_load_b128 s[4:7], s[0:1], 0x8
	s_load_b64 s[12:13], s[0:1], 0x0
	s_bfe_u32 s2, ttmp6, 0x40014
	s_lshr_b32 s3, ttmp7, 16
	s_add_co_i32 s2, s2, 1
	s_bfe_u32 s8, ttmp6, 0x40008
	s_mul_i32 s2, s3, s2
	s_getreg_b32 s9, hwreg(HW_REG_IB_STS2, 6, 4)
	s_add_co_i32 s8, s8, s2
	s_cmp_eq_u32 s9, 0
	v_and_b32_e32 v1, 0x7f, v0
	s_cselect_b32 s18, s3, s8
	v_lshrrev_b32_e32 v10, 7, v0
	s_mov_b32 s19, 0
	s_wait_kmcnt 0x0
	s_load_b64 s[8:9], s[4:5], s18 offset:0x0 scale_offset
	s_load_b32 s20, s[0:1], 0x18
	v_cmp_gt_i32_e64 s2, s12, v1
	v_lshlrev_b32_e32 v11, 3, v1
	s_wait_xcnt 0x0
	s_lshl_b64 s[4:5], s[6:7], 3
	s_wait_kmcnt 0x0
	s_add_nc_u64 s[14:15], s[8:9], s[4:5]
	s_and_saveexec_b32 s4, s2
	s_cbranch_execz .LBB24_6
; %bb.1:
	v_dual_mov_b32 v5, v1 :: v_dual_lshrrev_b32 v2, 7, v0
	s_lshl_b32 s5, s12, 4
	s_lshl_b32 s6, s20, 1
	s_mov_b32 s7, s19
	s_delay_alu instid0(VALU_DEP_1) | instskip(SKIP_2) | instid1(VALU_DEP_3)
	v_mul_lo_u32 v4, s12, v2
	v_mad_u32 v3, s20, v2, v1
	v_cmp_gt_i32_e32 vcc_lo, s13, v2
	v_lshlrev_b32_e32 v4, 3, v4
	s_delay_alu instid0(VALU_DEP_1)
	v_add3_u32 v4, v4, v11, 0
	s_branch .LBB24_3
.LBB24_2:                               ;   in Loop: Header=BB24_3 Depth=1
	s_or_b32 exec_lo, exec_lo, s8
	v_add_nc_u32_e32 v5, 0x80, v5
	v_add_nc_u32_e32 v4, 0x400, v4
	;; [unrolled: 1-line block ×3, first 2 shown]
	s_delay_alu instid0(VALU_DEP_3) | instskip(SKIP_1) | instid1(SALU_CYCLE_1)
	v_cmp_le_i32_e64 s3, s12, v5
	s_or_b32 s7, s3, s7
	s_and_not1_b32 exec_lo, exec_lo, s7
	s_cbranch_execz .LBB24_6
.LBB24_3:                               ; =>This Loop Header: Depth=1
                                        ;     Child Loop BB24_5 Depth 2
	s_and_saveexec_b32 s8, vcc_lo
	s_cbranch_execz .LBB24_2
; %bb.4:                                ;   in Loop: Header=BB24_3 Depth=1
	s_delay_alu instid0(VALU_DEP_1)
	v_dual_mov_b32 v6, v3 :: v_dual_mov_b32 v7, v4
	v_mov_b32_e32 v8, v2
	s_mov_b32 s9, 0
.LBB24_5:                               ;   Parent Loop BB24_3 Depth=1
                                        ; =>  This Inner Loop Header: Depth=2
	flat_load_b64 v[12:13], v6, s[14:15] scale_offset
	s_wait_xcnt 0x0
	v_dual_add_nc_u32 v8, 2, v8 :: v_dual_add_nc_u32 v6, s6, v6
	s_delay_alu instid0(VALU_DEP_1)
	v_cmp_le_i32_e64 s3, s13, v8
	s_or_b32 s9, s3, s9
	s_wait_loadcnt_dscnt 0x0
	ds_store_b64 v7, v[12:13]
	v_add_nc_u32_e32 v7, s5, v7
	s_and_not1_b32 exec_lo, exec_lo, s9
	s_cbranch_execnz .LBB24_5
	s_branch .LBB24_2
.LBB24_6:
	s_or_b32 exec_lo, exec_lo, s4
	s_min_i32 s21, s13, s12
	s_wait_dscnt 0x0
	s_cmp_lt_i32 s21, 1
	s_barrier_signal -1
	s_barrier_wait -1
	s_cbranch_scc1 .LBB24_43
; %bb.7:
	v_mbcnt_lo_u32_b32 v2, -1, 0
	s_load_b256 s[4:11], s[0:1], 0x28
	s_wait_xcnt 0x0
	s_mul_i32 s0, s13, s12
	s_lshl_b32 s1, s13, 3
	s_lshl_b32 s0, s0, 3
	v_cmp_ne_u32_e32 vcc_lo, 31, v2
	s_add_co_i32 s22, s0, 0
	v_lshl_or_b32 v16, v2, 2, 64
	v_and_b32_e32 v3, 31, v0
	s_add_co_i32 s23, s22, s1
	v_add_co_ci_u32_e64 v4, null, 0, v2, vcc_lo
	v_cmp_gt_u32_e32 vcc_lo, 30, v2
	s_mov_b32 s17, 0
	s_mov_b32 s24, 0
	s_delay_alu instid0(VALU_DEP_2)
	v_lshlrev_b32_e32 v12, 2, v4
	v_lshlrev_b32_e32 v4, 3, v0
	v_cndmask_b32_e64 v5, 0, 2, vcc_lo
	v_cmp_gt_u32_e32 vcc_lo, 28, v2
	s_mov_b32 s25, s13
	s_mov_b32 s26, s12
	s_wait_kmcnt 0x0
	s_mul_u64 s[0:1], s[6:7], s[18:19]
	v_add_lshl_u32 v13, v5, v2, 2
	v_cndmask_b32_e64 v6, 0, 4, vcc_lo
	v_cmp_gt_u32_e32 vcc_lo, 24, v2
	s_mul_u64 s[6:7], s[10:11], s[18:19]
	s_lshl_b64 s[0:1], s[0:1], 3
	s_lshl_b64 s[10:11], s[6:7], 3
	v_add_lshl_u32 v14, v6, v2, 2
	v_cndmask_b32_e64 v7, 0, 8, vcc_lo
	s_add_nc_u64 s[6:7], s[4:5], s[0:1]
	v_cmp_eq_u32_e64 s0, 0, v3
	v_dual_lshrrev_b32 v3, 2, v0 :: v_dual_mov_b32 v21, 0
	s_delay_alu instid0(VALU_DEP_3)
	v_add_lshl_u32 v15, v7, v2, 2
	v_mad_u32 v2, s12, v0, s12
	s_cmp_eq_u64 s[4:5], 0
	s_add_nc_u64 s[8:9], s[8:9], s[10:11]
	s_cselect_b32 s10, -1, 0
	s_cmp_lg_u64 s[4:5], 0
	v_add_nc_u32_e32 v20, s23, v3
	s_cselect_b32 s5, -1, 0
	s_lshl_b32 s11, s12, 3
	v_cmp_eq_u32_e64 s1, 0, v0
	v_add3_u32 v17, v4, 0, 8
	v_add3_u32 v19, 0, s11, v4
	v_lshl_add_u32 v18, v2, 3, 0
	v_mov_b64_e32 v[2:3], 0
	s_add_co_i32 s18, s11, 8
	s_lshl_b32 s19, s12, 11
	s_mov_b32 s16, s17
	s_branch .LBB24_9
.LBB24_8:                               ;   in Loop: Header=BB24_9 Depth=1
	s_or_b32 exec_lo, exec_lo, s4
	v_dual_add_nc_u32 v17, s18, v17 :: v_dual_add_nc_u32 v18, s18, v18
	v_add_nc_u32_e32 v19, s18, v19
	s_add_co_i32 s16, s16, 1
	s_add_co_i32 s25, s25, -1
	s_add_co_i32 s26, s26, -1
	s_add_co_i32 s24, s24, s18
	s_cmp_eq_u32 s16, s21
	s_wait_dscnt 0x0
	s_barrier_signal -1
	s_barrier_wait -1
	s_cbranch_scc1 .LBB24_43
.LBB24_9:                               ; =>This Loop Header: Depth=1
                                        ;     Child Loop BB24_11 Depth 2
                                        ;     Child Loop BB24_24 Depth 2
	;; [unrolled: 1-line block ×3, first 2 shown]
                                        ;       Child Loop BB24_30 Depth 3
                                        ;     Child Loop BB24_34 Depth 2
                                        ;       Child Loop BB24_36 Depth 3
	s_sub_co_i32 s27, s12, s16
	v_mov_b64_e32 v[4:5], 0
	s_add_co_i32 s29, s27, -1
	s_delay_alu instid0(SALU_CYCLE_1)
	v_cmp_gt_i32_e64 s3, s29, v0
	s_and_saveexec_b32 s4, s3
	s_cbranch_execz .LBB24_13
; %bb.10:                               ;   in Loop: Header=BB24_9 Depth=1
	v_mov_b64_e32 v[4:5], 0
	v_dual_mov_b32 v6, v17 :: v_dual_mov_b32 v7, v0
	s_mov_b32 s28, 0
.LBB24_11:                              ;   Parent Loop BB24_9 Depth=1
                                        ; =>  This Inner Loop Header: Depth=2
	ds_load_b64 v[8:9], v6
	v_add_nc_u32_e32 v7, 0x100, v7
	v_add_nc_u32_e32 v6, 0x800, v6
	s_delay_alu instid0(VALU_DEP_2)
	v_cmp_le_i32_e32 vcc_lo, s29, v7
	s_or_b32 s28, vcc_lo, s28
	s_wait_dscnt 0x0
	v_fmac_f64_e32 v[4:5], v[8:9], v[8:9]
	s_and_not1_b32 exec_lo, exec_lo, s28
	s_cbranch_execnz .LBB24_11
; %bb.12:                               ;   in Loop: Header=BB24_9 Depth=1
	s_or_b32 exec_lo, exec_lo, s28
.LBB24_13:                              ;   in Loop: Header=BB24_9 Depth=1
	s_delay_alu instid0(SALU_CYCLE_1)
	s_or_b32 exec_lo, exec_lo, s4
	ds_bpermute_b32 v6, v12, v4
	ds_bpermute_b32 v7, v12, v5
	s_wait_dscnt 0x0
	v_add_f64_e32 v[4:5], v[4:5], v[6:7]
	ds_bpermute_b32 v6, v13, v4
	ds_bpermute_b32 v7, v13, v5
	s_wait_dscnt 0x0
	v_add_f64_e32 v[4:5], v[4:5], v[6:7]
	;; [unrolled: 4-line block ×5, first 2 shown]
	s_and_saveexec_b32 s4, s0
; %bb.14:                               ;   in Loop: Header=BB24_9 Depth=1
	ds_store_b64 v20, v[4:5] offset:8
; %bb.15:                               ;   in Loop: Header=BB24_9 Depth=1
	s_or_b32 exec_lo, exec_lo, s4
	s_lshl_b32 s4, s16, 3
	s_mul_i32 s28, s16, s12
	s_add_co_i32 s4, s4, 0
	s_lshl_b32 s28, s28, 3
	s_wait_dscnt 0x0
	s_add_co_i32 s28, s4, s28
	s_barrier_signal -1
	s_barrier_wait -1
	s_and_saveexec_b32 s30, s1
	s_cbranch_execz .LBB24_22
; %bb.16:                               ;   in Loop: Header=BB24_9 Depth=1
	v_mov_b32_e32 v26, s23
	s_mov_b32 s4, 0
	s_mov_b32 s31, 0
	s_mov_b32 s33, exec_lo
	ds_load_2addr_b64 v[6:9], v26 offset0:2 offset1:3
	ds_load_2addr_b64 v[22:25], v26 offset0:4 offset1:5
	s_wait_dscnt 0x1
	v_add_f64_e32 v[4:5], v[4:5], v[6:7]
	s_delay_alu instid0(VALU_DEP_1) | instskip(SKIP_1) | instid1(VALU_DEP_1)
	v_add_f64_e32 v[4:5], v[4:5], v[8:9]
	s_wait_dscnt 0x0
	v_add_f64_e32 v[4:5], v[4:5], v[22:23]
	s_delay_alu instid0(VALU_DEP_1) | instskip(SKIP_4) | instid1(VALU_DEP_1)
	v_add_f64_e32 v[8:9], v[4:5], v[24:25]
	ds_load_2addr_b64 v[4:7], v26 offset0:6 offset1:7
	ds_load_b64 v[22:23], v26 offset:64
	s_wait_dscnt 0x1
	v_add_f64_e32 v[4:5], v[8:9], v[4:5]
	v_add_f64_e32 v[4:5], v[4:5], v[6:7]
	s_wait_dscnt 0x0
	s_delay_alu instid0(VALU_DEP_1) | instskip(NEXT) | instid1(VALU_DEP_1)
	v_add_f64_e32 v[8:9], v[4:5], v[22:23]
                                        ; implicit-def: $vgpr4_vgpr5
	v_cmpx_nlt_f64_e32 0, v[8:9]
	s_xor_b32 s33, exec_lo, s33
	s_cbranch_execnz .LBB24_37
; %bb.17:                               ;   in Loop: Header=BB24_9 Depth=1
	s_or_saveexec_b32 s33, s33
	v_mov_b64_e32 v[6:7], 1.0
	s_xor_b32 exec_lo, exec_lo, s33
	s_cbranch_execnz .LBB24_41
.LBB24_18:                              ;   in Loop: Header=BB24_9 Depth=1
	s_or_b32 exec_lo, exec_lo, s33
	s_and_saveexec_b32 s33, s31
	s_cbranch_execnz .LBB24_42
.LBB24_19:                              ;   in Loop: Header=BB24_9 Depth=1
	s_or_b32 exec_lo, exec_lo, s33
	v_mov_b64_e32 v[8:9], 0
	s_and_saveexec_b32 s31, s4
	s_cbranch_execz .LBB24_21
.LBB24_20:                              ;   in Loop: Header=BB24_9 Depth=1
	v_dual_mov_b32 v8, s28 :: v_dual_mov_b32 v9, s23
	s_wait_dscnt 0x0
	ds_store_b64 v8, v[4:5]
	ds_load_b64 v[8:9], v9
.LBB24_21:                              ;   in Loop: Header=BB24_9 Depth=1
	s_or_b32 exec_lo, exec_lo, s31
	s_wait_dscnt 0x0
	v_mov_b32_e32 v4, s23
	s_lshl_b64 s[34:35], s[16:17], 3
	s_delay_alu instid0(SALU_CYCLE_1)
	s_add_nc_u64 s[34:35], s[8:9], s[34:35]
	global_store_b64 v21, v[8:9], s[34:35]
	ds_store_b64 v4, v[6:7] offset:8
.LBB24_22:                              ;   in Loop: Header=BB24_9 Depth=1
	s_wait_xcnt 0x0
	s_or_b32 exec_lo, exec_lo, s30
	s_wait_storecnt_dscnt 0x0
	s_barrier_signal -1
	s_barrier_wait -1
	s_and_saveexec_b32 s4, s3
	s_cbranch_execz .LBB24_25
; %bb.23:                               ;   in Loop: Header=BB24_9 Depth=1
	v_mov_b32_e32 v4, v0
	s_mov_b32 s3, 0
	s_mov_b32 s30, 0
.LBB24_24:                              ;   Parent Loop BB24_9 Depth=1
                                        ; =>  This Inner Loop Header: Depth=2
	s_delay_alu instid0(SALU_CYCLE_1) | instskip(NEXT) | instid1(VALU_DEP_2)
	v_dual_mov_b32 v5, s23 :: v_dual_add_nc_u32 v22, s30, v17
	v_add_nc_u32_e32 v4, 0x100, v4
	s_addk_co_i32 s30, 0x800
	ds_load_b64 v[6:7], v5 offset:8
	ds_load_b64 v[8:9], v22
	v_cmp_le_i32_e32 vcc_lo, s29, v4
	s_or_b32 s3, vcc_lo, s3
	s_wait_dscnt 0x0
	v_mul_f64_e32 v[6:7], v[6:7], v[8:9]
	ds_store_b64 v22, v[6:7]
	s_and_not1_b32 exec_lo, exec_lo, s3
	s_cbranch_execnz .LBB24_24
.LBB24_25:                              ;   in Loop: Header=BB24_9 Depth=1
	s_or_b32 exec_lo, exec_lo, s4
	s_not_b32 s3, s16
	s_mov_b32 s4, exec_lo
	s_add_co_i32 s3, s13, s3
	s_wait_dscnt 0x0
	s_barrier_signal -1
	s_barrier_wait -1
	v_cmpx_gt_i32_e64 s3, v0
	s_cbranch_execz .LBB24_31
; %bb.26:                               ;   in Loop: Header=BB24_9 Depth=1
	v_dual_mov_b32 v6, v18 :: v_dual_mov_b32 v7, v0
	s_cmp_gt_i32 s27, 0
	s_mov_b32 s29, 0
	s_cselect_b32 s30, -1, 0
	s_branch .LBB24_28
.LBB24_27:                              ;   in Loop: Header=BB24_28 Depth=2
	v_dual_mov_b32 v8, s23 :: v_dual_add_nc_u32 v6, s19, v6
	ds_load_b64 v[8:9], v8
	s_wait_dscnt 0x0
	v_mul_f64_e32 v[4:5], v[4:5], v[8:9]
	v_lshl_add_u32 v8, v7, 3, s22
	v_add_nc_u32_e32 v7, 0x100, v7
	s_delay_alu instid0(VALU_DEP_1)
	v_cmp_le_i32_e32 vcc_lo, s3, v7
	s_or_b32 s29, vcc_lo, s29
	ds_store_b64 v8, v[4:5]
	s_and_not1_b32 exec_lo, exec_lo, s29
	s_cbranch_execz .LBB24_31
.LBB24_28:                              ;   Parent Loop BB24_9 Depth=1
                                        ; =>  This Loop Header: Depth=2
                                        ;       Child Loop BB24_30 Depth 3
	v_mov_b64_e32 v[4:5], 0
	s_and_not1_b32 vcc_lo, exec_lo, s30
	s_cbranch_vccnz .LBB24_27
; %bb.29:                               ;   in Loop: Header=BB24_28 Depth=2
	v_mov_b32_e32 v8, v6
	s_mov_b32 s31, s24
	s_mov_b32 s33, s26
.LBB24_30:                              ;   Parent Loop BB24_9 Depth=1
                                        ;     Parent Loop BB24_28 Depth=2
                                        ; =>    This Inner Loop Header: Depth=3
	v_mov_b32_e32 v9, s31
	s_add_co_i32 s33, s33, -1
	s_add_co_i32 s31, s31, 8
	s_cmp_eq_u32 s33, 0
	ds_load_b64 v[22:23], v8
	ds_load_b64 v[24:25], v9
	v_add_nc_u32_e32 v8, 8, v8
	s_wait_dscnt 0x0
	v_fmac_f64_e32 v[4:5], v[22:23], v[24:25]
	s_cbranch_scc0 .LBB24_30
	s_branch .LBB24_27
.LBB24_31:                              ;   in Loop: Header=BB24_9 Depth=1
	s_or_b32 exec_lo, exec_lo, s4
	s_delay_alu instid0(SALU_CYCLE_1)
	s_mov_b32 s4, exec_lo
	s_wait_dscnt 0x0
	s_barrier_signal -1
	s_barrier_wait -1
	v_cmpx_gt_i32_e64 s27, v0
	s_cbranch_execz .LBB24_8
; %bb.32:                               ;   in Loop: Header=BB24_9 Depth=1
	v_dual_mov_b32 v4, v19 :: v_dual_mov_b32 v5, v0
	s_cmp_gt_i32 s3, 0
	s_mov_b32 s3, 0
	s_cselect_b32 s29, -1, 0
	s_branch .LBB24_34
.LBB24_33:                              ;   in Loop: Header=BB24_34 Depth=2
	v_add_nc_u32_e32 v5, 0x100, v5
	v_add_nc_u32_e32 v4, 0x800, v4
	s_delay_alu instid0(VALU_DEP_2) | instskip(SKIP_1) | instid1(SALU_CYCLE_1)
	v_cmp_le_i32_e32 vcc_lo, s27, v5
	s_or_b32 s3, vcc_lo, s3
	s_and_not1_b32 exec_lo, exec_lo, s3
	s_cbranch_execz .LBB24_8
.LBB24_34:                              ;   Parent Loop BB24_9 Depth=1
                                        ; =>  This Loop Header: Depth=2
                                        ;       Child Loop BB24_36 Depth 3
	s_and_not1_b32 vcc_lo, exec_lo, s29
	s_cbranch_vccnz .LBB24_33
; %bb.35:                               ;   in Loop: Header=BB24_34 Depth=2
	v_lshl_add_u32 v6, v5, 3, s28
	v_mov_b32_e32 v7, v4
	s_mov_b32 s30, 1
	s_mov_b32 s31, s22
.LBB24_36:                              ;   Parent Loop BB24_9 Depth=1
                                        ;     Parent Loop BB24_34 Depth=2
                                        ; =>    This Inner Loop Header: Depth=3
	s_delay_alu instid0(SALU_CYCLE_1)
	v_mov_b32_e32 v24, s31
	s_add_co_i32 s30, s30, 1
	s_add_co_i32 s31, s31, 8
	ds_load_b64 v[8:9], v7
	ds_load_b64 v[22:23], v6
	ds_load_b64 v[24:25], v24
	s_cmp_eq_u32 s25, s30
	s_wait_dscnt 0x0
	v_fma_f64 v[8:9], -v[22:23], v[24:25], v[8:9]
	ds_store_b64 v7, v[8:9]
	v_add_nc_u32_e32 v7, s11, v7
	s_cbranch_scc0 .LBB24_36
	s_branch .LBB24_33
.LBB24_37:                              ;   in Loop: Header=BB24_9 Depth=1
	v_mov_b32_e32 v4, s23
	s_and_b32 vcc_lo, exec_lo, s5
	ds_store_b64 v4, v[2:3]
	s_cbranch_vccz .LBB24_39
; %bb.38:                               ;   in Loop: Header=BB24_9 Depth=1
	v_mov_b32_e32 v4, s28
	s_mov_b32 s31, -1
	ds_load_b64 v[4:5], v4
	s_branch .LBB24_40
.LBB24_39:                              ;   in Loop: Header=BB24_9 Depth=1
                                        ; implicit-def: $vgpr4_vgpr5
.LBB24_40:                              ;   in Loop: Header=BB24_9 Depth=1
	s_and_b32 s31, s31, exec_lo
                                        ; implicit-def: $vgpr8_vgpr9
	s_or_saveexec_b32 s33, s33
	v_mov_b64_e32 v[6:7], 1.0
	s_xor_b32 exec_lo, exec_lo, s33
	s_cbranch_execz .LBB24_18
.LBB24_41:                              ;   in Loop: Header=BB24_9 Depth=1
	s_wait_dscnt 0x0
	v_mov_b32_e32 v4, s28
	s_and_not1_b32 s31, s31, exec_lo
	s_and_b32 s34, s5, exec_lo
	s_delay_alu instid0(SALU_CYCLE_1) | instskip(SKIP_3) | instid1(VALU_DEP_1)
	s_or_b32 s31, s31, s34
	ds_load_b64 v[6:7], v4
	s_wait_dscnt 0x0
	v_fmac_f64_e32 v[8:9], v[6:7], v[6:7]
	v_cmp_gt_f64_e32 vcc_lo, 0x10000000, v[8:9]
	v_cndmask_b32_e64 v4, 0, 0x100, vcc_lo
	s_delay_alu instid0(VALU_DEP_1) | instskip(NEXT) | instid1(VALU_DEP_1)
	v_ldexp_f64 v[4:5], v[8:9], v4
	v_rsq_f64_e32 v[8:9], v[4:5]
	v_nop
	s_delay_alu instid0(TRANS32_DEP_1) | instskip(SKIP_1) | instid1(VALU_DEP_1)
	v_mul_f64_e32 v[22:23], v[4:5], v[8:9]
	v_mul_f64_e32 v[8:9], 0.5, v[8:9]
	v_fma_f64 v[24:25], -v[8:9], v[22:23], 0.5
	s_delay_alu instid0(VALU_DEP_1) | instskip(SKIP_1) | instid1(VALU_DEP_2)
	v_fmac_f64_e32 v[22:23], v[22:23], v[24:25]
	v_fmac_f64_e32 v[8:9], v[8:9], v[24:25]
	v_fma_f64 v[24:25], -v[22:23], v[22:23], v[4:5]
	s_delay_alu instid0(VALU_DEP_1) | instskip(NEXT) | instid1(VALU_DEP_1)
	v_fmac_f64_e32 v[22:23], v[24:25], v[8:9]
	v_fma_f64 v[24:25], -v[22:23], v[22:23], v[4:5]
	s_delay_alu instid0(VALU_DEP_1) | instskip(SKIP_2) | instid1(VALU_DEP_2)
	v_fmac_f64_e32 v[22:23], v[24:25], v[8:9]
	v_cndmask_b32_e64 v8, 0, 0xffffff80, vcc_lo
	v_cmp_class_f64_e64 vcc_lo, v[4:5], 0x260
	v_ldexp_f64 v[8:9], v[22:23], v8
	s_delay_alu instid0(VALU_DEP_1) | instskip(SKIP_1) | instid1(VALU_DEP_2)
	v_dual_cndmask_b32 v4, v8, v4 :: v_dual_cndmask_b32 v5, v9, v5
	v_cmp_le_f64_e32 vcc_lo, 0, v[6:7]
	v_xor_b32_e32 v8, 0x80000000, v5
	s_delay_alu instid0(VALU_DEP_1) | instskip(NEXT) | instid1(VALU_DEP_1)
	v_cndmask_b32_e32 v5, v5, v8, vcc_lo
	v_add_f64_e64 v[8:9], v[6:7], -v[4:5]
	v_add_f64_e64 v[6:7], v[4:5], -v[6:7]
	s_delay_alu instid0(VALU_DEP_2) | instskip(NEXT) | instid1(VALU_DEP_2)
	v_div_scale_f64 v[22:23], null, v[8:9], v[8:9], 1.0
	v_div_scale_f64 v[24:25], null, v[4:5], v[4:5], v[6:7]
	v_div_scale_f64 v[34:35], vcc_lo, 1.0, v[8:9], 1.0
	s_delay_alu instid0(VALU_DEP_3) | instskip(NEXT) | instid1(VALU_DEP_2)
	v_rcp_f64_e32 v[26:27], v[22:23]
	v_rcp_f64_e32 v[28:29], v[24:25]
	s_delay_alu instid0(TRANS32_DEP_2) | instskip(NEXT) | instid1(TRANS32_DEP_1)
	v_fma_f64 v[30:31], -v[22:23], v[26:27], 1.0
	v_fma_f64 v[32:33], -v[24:25], v[28:29], 1.0
	s_delay_alu instid0(VALU_DEP_2) | instskip(NEXT) | instid1(VALU_DEP_2)
	v_fmac_f64_e32 v[26:27], v[26:27], v[30:31]
	v_fmac_f64_e32 v[28:29], v[28:29], v[32:33]
	s_delay_alu instid0(VALU_DEP_2) | instskip(NEXT) | instid1(VALU_DEP_2)
	v_fma_f64 v[30:31], -v[22:23], v[26:27], 1.0
	v_fma_f64 v[32:33], -v[24:25], v[28:29], 1.0
	s_delay_alu instid0(VALU_DEP_2) | instskip(NEXT) | instid1(VALU_DEP_2)
	v_fmac_f64_e32 v[26:27], v[26:27], v[30:31]
	v_fmac_f64_e32 v[28:29], v[28:29], v[32:33]
	s_delay_alu instid0(VALU_DEP_2) | instskip(SKIP_1) | instid1(VALU_DEP_2)
	v_mul_f64_e32 v[32:33], v[34:35], v[26:27]
	v_div_scale_f64 v[30:31], s4, v[6:7], v[4:5], v[6:7]
	v_fma_f64 v[22:23], -v[22:23], v[32:33], v[34:35]
	s_delay_alu instid0(VALU_DEP_2) | instskip(NEXT) | instid1(VALU_DEP_2)
	v_mul_f64_e32 v[36:37], v[30:31], v[28:29]
	v_div_fmas_f64 v[22:23], v[22:23], v[26:27], v[32:33]
	s_delay_alu instid0(VALU_DEP_2) | instskip(SKIP_2) | instid1(VALU_DEP_1)
	v_fma_f64 v[24:25], -v[24:25], v[36:37], v[30:31]
	s_mov_b32 vcc_lo, s4
	s_and_b32 s4, s10, exec_lo
	v_div_fmas_f64 v[24:25], v[24:25], v[28:29], v[36:37]
	s_delay_alu instid0(VALU_DEP_1) | instskip(NEXT) | instid1(VALU_DEP_4)
	v_div_fixup_f64 v[24:25], v[24:25], v[4:5], v[6:7]
	v_div_fixup_f64 v[6:7], v[22:23], v[8:9], 1.0
	v_mov_b32_e32 v8, s23
	ds_store_b64 v8, v[24:25]
	s_or_b32 exec_lo, exec_lo, s33
	s_and_saveexec_b32 s33, s31
	s_cbranch_execz .LBB24_19
.LBB24_42:                              ;   in Loop: Header=BB24_9 Depth=1
	s_lshl_b64 s[34:35], s[16:17], 3
	s_or_b32 s4, s4, exec_lo
	s_add_nc_u64 s[34:35], s[6:7], s[34:35]
	s_wait_dscnt 0x0
	global_store_b64 v21, v[4:5], s[34:35]
	s_wait_xcnt 0x0
	v_mov_b64_e32 v[4:5], 1.0
	s_or_b32 exec_lo, exec_lo, s33
	v_mov_b64_e32 v[8:9], 0
	s_and_saveexec_b32 s31, s4
	s_cbranch_execnz .LBB24_20
	s_branch .LBB24_21
.LBB24_43:
	s_and_saveexec_b32 s0, s2
	s_cbranch_execz .LBB24_49
; %bb.44:
	v_mul_lo_u32 v2, s12, v10
	v_mad_u32 v0, s20, v10, v1
	s_lshl_b32 s1, s20, 1
	s_mov_b32 s2, 0
	s_lshl_b32 s3, s12, 4
	v_cmp_gt_i32_e32 vcc_lo, s13, v10
	s_delay_alu instid0(VALU_DEP_3) | instskip(NEXT) | instid1(VALU_DEP_1)
	v_lshlrev_b32_e32 v2, 3, v2
	v_add3_u32 v2, v2, v11, 0
	s_branch .LBB24_46
.LBB24_45:                              ;   in Loop: Header=BB24_46 Depth=1
	s_or_b32 exec_lo, exec_lo, s4
	v_add_nc_u32_e32 v1, 0x80, v1
	v_add_nc_u32_e32 v0, 0x80, v0
	;; [unrolled: 1-line block ×3, first 2 shown]
	s_delay_alu instid0(VALU_DEP_3) | instskip(SKIP_1) | instid1(SALU_CYCLE_1)
	v_cmp_le_i32_e64 s0, s12, v1
	s_or_b32 s2, s0, s2
	s_and_not1_b32 exec_lo, exec_lo, s2
	s_cbranch_execz .LBB24_49
.LBB24_46:                              ; =>This Loop Header: Depth=1
                                        ;     Child Loop BB24_48 Depth 2
	s_and_saveexec_b32 s4, vcc_lo
	s_cbranch_execz .LBB24_45
; %bb.47:                               ;   in Loop: Header=BB24_46 Depth=1
	s_delay_alu instid0(VALU_DEP_1)
	v_dual_mov_b32 v3, v2 :: v_dual_mov_b32 v4, v0
	v_mov_b32_e32 v5, v10
	s_mov_b32 s5, 0
.LBB24_48:                              ;   Parent Loop BB24_46 Depth=1
                                        ; =>  This Inner Loop Header: Depth=2
	ds_load_b64 v[6:7], v3
	v_dual_add_nc_u32 v5, 2, v5 :: v_dual_add_nc_u32 v3, s3, v3
	s_delay_alu instid0(VALU_DEP_1)
	v_cmp_le_i32_e64 s0, s13, v5
	s_or_b32 s5, s0, s5
	s_wait_dscnt 0x0
	flat_store_b64 v4, v[6:7], s[14:15] scale_offset
	s_wait_xcnt 0x0
	v_add_nc_u32_e32 v4, s1, v4
	s_and_not1_b32 exec_lo, exec_lo, s5
	s_cbranch_execnz .LBB24_48
	s_branch .LBB24_45
.LBB24_49:
	s_endpgm
	.section	.rodata,"a",@progbits
	.p2align	6, 0x0
	.amdhsa_kernel _ZN9rocsolver6v33100L18geqr2_kernel_smallILi256EdidPKPdEEvT1_S5_T3_lS5_lPT2_lPT0_l
		.amdhsa_group_segment_fixed_size 0
		.amdhsa_private_segment_fixed_size 0
		.amdhsa_kernarg_size 72
		.amdhsa_user_sgpr_count 2
		.amdhsa_user_sgpr_dispatch_ptr 0
		.amdhsa_user_sgpr_queue_ptr 0
		.amdhsa_user_sgpr_kernarg_segment_ptr 1
		.amdhsa_user_sgpr_dispatch_id 0
		.amdhsa_user_sgpr_kernarg_preload_length 0
		.amdhsa_user_sgpr_kernarg_preload_offset 0
		.amdhsa_user_sgpr_private_segment_size 0
		.amdhsa_wavefront_size32 1
		.amdhsa_uses_dynamic_stack 0
		.amdhsa_enable_private_segment 0
		.amdhsa_system_sgpr_workgroup_id_x 1
		.amdhsa_system_sgpr_workgroup_id_y 0
		.amdhsa_system_sgpr_workgroup_id_z 1
		.amdhsa_system_sgpr_workgroup_info 0
		.amdhsa_system_vgpr_workitem_id 0
		.amdhsa_next_free_vgpr 38
		.amdhsa_next_free_sgpr 36
		.amdhsa_named_barrier_count 0
		.amdhsa_reserve_vcc 1
		.amdhsa_float_round_mode_32 0
		.amdhsa_float_round_mode_16_64 0
		.amdhsa_float_denorm_mode_32 3
		.amdhsa_float_denorm_mode_16_64 3
		.amdhsa_fp16_overflow 0
		.amdhsa_memory_ordered 1
		.amdhsa_forward_progress 1
		.amdhsa_inst_pref_size 20
		.amdhsa_round_robin_scheduling 0
		.amdhsa_exception_fp_ieee_invalid_op 0
		.amdhsa_exception_fp_denorm_src 0
		.amdhsa_exception_fp_ieee_div_zero 0
		.amdhsa_exception_fp_ieee_overflow 0
		.amdhsa_exception_fp_ieee_underflow 0
		.amdhsa_exception_fp_ieee_inexact 0
		.amdhsa_exception_int_div_zero 0
	.end_amdhsa_kernel
	.section	.text._ZN9rocsolver6v33100L18geqr2_kernel_smallILi256EdidPKPdEEvT1_S5_T3_lS5_lPT2_lPT0_l,"axG",@progbits,_ZN9rocsolver6v33100L18geqr2_kernel_smallILi256EdidPKPdEEvT1_S5_T3_lS5_lPT2_lPT0_l,comdat
.Lfunc_end24:
	.size	_ZN9rocsolver6v33100L18geqr2_kernel_smallILi256EdidPKPdEEvT1_S5_T3_lS5_lPT2_lPT0_l, .Lfunc_end24-_ZN9rocsolver6v33100L18geqr2_kernel_smallILi256EdidPKPdEEvT1_S5_T3_lS5_lPT2_lPT0_l
                                        ; -- End function
	.set _ZN9rocsolver6v33100L18geqr2_kernel_smallILi256EdidPKPdEEvT1_S5_T3_lS5_lPT2_lPT0_l.num_vgpr, 38
	.set _ZN9rocsolver6v33100L18geqr2_kernel_smallILi256EdidPKPdEEvT1_S5_T3_lS5_lPT2_lPT0_l.num_agpr, 0
	.set _ZN9rocsolver6v33100L18geqr2_kernel_smallILi256EdidPKPdEEvT1_S5_T3_lS5_lPT2_lPT0_l.numbered_sgpr, 36
	.set _ZN9rocsolver6v33100L18geqr2_kernel_smallILi256EdidPKPdEEvT1_S5_T3_lS5_lPT2_lPT0_l.num_named_barrier, 0
	.set _ZN9rocsolver6v33100L18geqr2_kernel_smallILi256EdidPKPdEEvT1_S5_T3_lS5_lPT2_lPT0_l.private_seg_size, 0
	.set _ZN9rocsolver6v33100L18geqr2_kernel_smallILi256EdidPKPdEEvT1_S5_T3_lS5_lPT2_lPT0_l.uses_vcc, 1
	.set _ZN9rocsolver6v33100L18geqr2_kernel_smallILi256EdidPKPdEEvT1_S5_T3_lS5_lPT2_lPT0_l.uses_flat_scratch, 0
	.set _ZN9rocsolver6v33100L18geqr2_kernel_smallILi256EdidPKPdEEvT1_S5_T3_lS5_lPT2_lPT0_l.has_dyn_sized_stack, 0
	.set _ZN9rocsolver6v33100L18geqr2_kernel_smallILi256EdidPKPdEEvT1_S5_T3_lS5_lPT2_lPT0_l.has_recursion, 0
	.set _ZN9rocsolver6v33100L18geqr2_kernel_smallILi256EdidPKPdEEvT1_S5_T3_lS5_lPT2_lPT0_l.has_indirect_call, 0
	.section	.AMDGPU.csdata,"",@progbits
; Kernel info:
; codeLenInByte = 2540
; TotalNumSgprs: 38
; NumVgprs: 38
; ScratchSize: 0
; MemoryBound: 0
; FloatMode: 240
; IeeeMode: 1
; LDSByteSize: 0 bytes/workgroup (compile time only)
; SGPRBlocks: 0
; VGPRBlocks: 2
; NumSGPRsForWavesPerEU: 38
; NumVGPRsForWavesPerEU: 38
; NamedBarCnt: 0
; Occupancy: 16
; WaveLimiterHint : 1
; COMPUTE_PGM_RSRC2:SCRATCH_EN: 0
; COMPUTE_PGM_RSRC2:USER_SGPR: 2
; COMPUTE_PGM_RSRC2:TRAP_HANDLER: 0
; COMPUTE_PGM_RSRC2:TGID_X_EN: 1
; COMPUTE_PGM_RSRC2:TGID_Y_EN: 0
; COMPUTE_PGM_RSRC2:TGID_Z_EN: 1
; COMPUTE_PGM_RSRC2:TIDIG_COMP_CNT: 0
	.section	.text._ZN9rocsolver6v33100L16reset_batch_infoIdiiPdEEvT2_lT0_T1_,"axG",@progbits,_ZN9rocsolver6v33100L16reset_batch_infoIdiiPdEEvT2_lT0_T1_,comdat
	.globl	_ZN9rocsolver6v33100L16reset_batch_infoIdiiPdEEvT2_lT0_T1_ ; -- Begin function _ZN9rocsolver6v33100L16reset_batch_infoIdiiPdEEvT2_lT0_T1_
	.p2align	8
	.type	_ZN9rocsolver6v33100L16reset_batch_infoIdiiPdEEvT2_lT0_T1_,@function
_ZN9rocsolver6v33100L16reset_batch_infoIdiiPdEEvT2_lT0_T1_: ; @_ZN9rocsolver6v33100L16reset_batch_infoIdiiPdEEvT2_lT0_T1_
; %bb.0:
	s_clause 0x1
	s_load_b32 s5, s[0:1], 0x24
	s_load_b64 s[2:3], s[0:1], 0x10
	s_bfe_u32 s4, ttmp6, 0x4000c
	s_and_b32 s6, ttmp6, 15
	s_add_co_i32 s7, s4, 1
	s_getreg_b32 s4, hwreg(HW_REG_IB_STS2, 6, 4)
	s_mul_i32 s7, ttmp9, s7
	s_delay_alu instid0(SALU_CYCLE_1) | instskip(SKIP_4) | instid1(SALU_CYCLE_1)
	s_add_co_i32 s6, s6, s7
	s_wait_kmcnt 0x0
	s_and_b32 s5, s5, 0xffff
	s_cmp_eq_u32 s4, 0
	s_cselect_b32 s6, ttmp9, s6
	v_mad_u32 v0, s6, s5, v0
	s_delay_alu instid0(VALU_DEP_1)
	v_cmp_gt_i32_e32 vcc_lo, s2, v0
	s_and_saveexec_b32 s2, vcc_lo
	s_cbranch_execz .LBB25_2
; %bb.1:
	v_cvt_f64_i32_e32 v[2:3], s3
	s_load_b128 s[0:3], s[0:1], 0x0
	s_bfe_u32 s5, ttmp6, 0x40010
	s_bfe_u32 s6, ttmp6, 0x40004
	s_add_co_i32 s5, s5, 1
	s_delay_alu instid0(SALU_CYCLE_1) | instskip(NEXT) | instid1(SALU_CYCLE_1)
	s_mul_i32 s5, ttmp7, s5
	s_add_co_i32 s6, s6, s5
	s_cmp_eq_u32 s4, 0
	s_cselect_b32 s4, ttmp7, s6
	s_delay_alu instid0(SALU_CYCLE_1) | instskip(SKIP_2) | instid1(SALU_CYCLE_1)
	s_ashr_i32 s5, s4, 31
	s_wait_kmcnt 0x0
	s_mul_u64 s[2:3], s[2:3], s[4:5]
	s_lshl_b64 s[2:3], s[2:3], 3
	s_delay_alu instid0(SALU_CYCLE_1)
	s_add_nc_u64 s[0:1], s[0:1], s[2:3]
	global_store_b64 v0, v[2:3], s[0:1] scale_offset
.LBB25_2:
	s_endpgm
	.section	.rodata,"a",@progbits
	.p2align	6, 0x0
	.amdhsa_kernel _ZN9rocsolver6v33100L16reset_batch_infoIdiiPdEEvT2_lT0_T1_
		.amdhsa_group_segment_fixed_size 0
		.amdhsa_private_segment_fixed_size 0
		.amdhsa_kernarg_size 280
		.amdhsa_user_sgpr_count 2
		.amdhsa_user_sgpr_dispatch_ptr 0
		.amdhsa_user_sgpr_queue_ptr 0
		.amdhsa_user_sgpr_kernarg_segment_ptr 1
		.amdhsa_user_sgpr_dispatch_id 0
		.amdhsa_user_sgpr_kernarg_preload_length 0
		.amdhsa_user_sgpr_kernarg_preload_offset 0
		.amdhsa_user_sgpr_private_segment_size 0
		.amdhsa_wavefront_size32 1
		.amdhsa_uses_dynamic_stack 0
		.amdhsa_enable_private_segment 0
		.amdhsa_system_sgpr_workgroup_id_x 1
		.amdhsa_system_sgpr_workgroup_id_y 1
		.amdhsa_system_sgpr_workgroup_id_z 0
		.amdhsa_system_sgpr_workgroup_info 0
		.amdhsa_system_vgpr_workitem_id 0
		.amdhsa_next_free_vgpr 4
		.amdhsa_next_free_sgpr 8
		.amdhsa_named_barrier_count 0
		.amdhsa_reserve_vcc 1
		.amdhsa_float_round_mode_32 0
		.amdhsa_float_round_mode_16_64 0
		.amdhsa_float_denorm_mode_32 3
		.amdhsa_float_denorm_mode_16_64 3
		.amdhsa_fp16_overflow 0
		.amdhsa_memory_ordered 1
		.amdhsa_forward_progress 1
		.amdhsa_inst_pref_size 2
		.amdhsa_round_robin_scheduling 0
		.amdhsa_exception_fp_ieee_invalid_op 0
		.amdhsa_exception_fp_denorm_src 0
		.amdhsa_exception_fp_ieee_div_zero 0
		.amdhsa_exception_fp_ieee_overflow 0
		.amdhsa_exception_fp_ieee_underflow 0
		.amdhsa_exception_fp_ieee_inexact 0
		.amdhsa_exception_int_div_zero 0
	.end_amdhsa_kernel
	.section	.text._ZN9rocsolver6v33100L16reset_batch_infoIdiiPdEEvT2_lT0_T1_,"axG",@progbits,_ZN9rocsolver6v33100L16reset_batch_infoIdiiPdEEvT2_lT0_T1_,comdat
.Lfunc_end25:
	.size	_ZN9rocsolver6v33100L16reset_batch_infoIdiiPdEEvT2_lT0_T1_, .Lfunc_end25-_ZN9rocsolver6v33100L16reset_batch_infoIdiiPdEEvT2_lT0_T1_
                                        ; -- End function
	.set _ZN9rocsolver6v33100L16reset_batch_infoIdiiPdEEvT2_lT0_T1_.num_vgpr, 4
	.set _ZN9rocsolver6v33100L16reset_batch_infoIdiiPdEEvT2_lT0_T1_.num_agpr, 0
	.set _ZN9rocsolver6v33100L16reset_batch_infoIdiiPdEEvT2_lT0_T1_.numbered_sgpr, 8
	.set _ZN9rocsolver6v33100L16reset_batch_infoIdiiPdEEvT2_lT0_T1_.num_named_barrier, 0
	.set _ZN9rocsolver6v33100L16reset_batch_infoIdiiPdEEvT2_lT0_T1_.private_seg_size, 0
	.set _ZN9rocsolver6v33100L16reset_batch_infoIdiiPdEEvT2_lT0_T1_.uses_vcc, 1
	.set _ZN9rocsolver6v33100L16reset_batch_infoIdiiPdEEvT2_lT0_T1_.uses_flat_scratch, 0
	.set _ZN9rocsolver6v33100L16reset_batch_infoIdiiPdEEvT2_lT0_T1_.has_dyn_sized_stack, 0
	.set _ZN9rocsolver6v33100L16reset_batch_infoIdiiPdEEvT2_lT0_T1_.has_recursion, 0
	.set _ZN9rocsolver6v33100L16reset_batch_infoIdiiPdEEvT2_lT0_T1_.has_indirect_call, 0
	.section	.AMDGPU.csdata,"",@progbits
; Kernel info:
; codeLenInByte = 192
; TotalNumSgprs: 10
; NumVgprs: 4
; ScratchSize: 0
; MemoryBound: 0
; FloatMode: 240
; IeeeMode: 1
; LDSByteSize: 0 bytes/workgroup (compile time only)
; SGPRBlocks: 0
; VGPRBlocks: 0
; NumSGPRsForWavesPerEU: 10
; NumVGPRsForWavesPerEU: 4
; NamedBarCnt: 0
; Occupancy: 16
; WaveLimiterHint : 0
; COMPUTE_PGM_RSRC2:SCRATCH_EN: 0
; COMPUTE_PGM_RSRC2:USER_SGPR: 2
; COMPUTE_PGM_RSRC2:TRAP_HANDLER: 0
; COMPUTE_PGM_RSRC2:TGID_X_EN: 1
; COMPUTE_PGM_RSRC2:TGID_Y_EN: 1
; COMPUTE_PGM_RSRC2:TGID_Z_EN: 0
; COMPUTE_PGM_RSRC2:TIDIG_COMP_CNT: 0
	.section	.text._ZN9rocsolver6v33100L8set_diagIdidPKPdTnNSt9enable_ifIXoont18rocblas_is_complexIT_E18rocblas_is_complexIT1_EEiE4typeELi0EEEvPS7_llT2_lT0_lSC_b,"axG",@progbits,_ZN9rocsolver6v33100L8set_diagIdidPKPdTnNSt9enable_ifIXoont18rocblas_is_complexIT_E18rocblas_is_complexIT1_EEiE4typeELi0EEEvPS7_llT2_lT0_lSC_b,comdat
	.globl	_ZN9rocsolver6v33100L8set_diagIdidPKPdTnNSt9enable_ifIXoont18rocblas_is_complexIT_E18rocblas_is_complexIT1_EEiE4typeELi0EEEvPS7_llT2_lT0_lSC_b ; -- Begin function _ZN9rocsolver6v33100L8set_diagIdidPKPdTnNSt9enable_ifIXoont18rocblas_is_complexIT_E18rocblas_is_complexIT1_EEiE4typeELi0EEEvPS7_llT2_lT0_lSC_b
	.p2align	8
	.type	_ZN9rocsolver6v33100L8set_diagIdidPKPdTnNSt9enable_ifIXoont18rocblas_is_complexIT_E18rocblas_is_complexIT1_EEiE4typeELi0EEEvPS7_llT2_lT0_lSC_b,@function
_ZN9rocsolver6v33100L8set_diagIdidPKPdTnNSt9enable_ifIXoont18rocblas_is_complexIT_E18rocblas_is_complexIT1_EEiE4typeELi0EEEvPS7_llT2_lT0_lSC_b: ; @_ZN9rocsolver6v33100L8set_diagIdidPKPdTnNSt9enable_ifIXoont18rocblas_is_complexIT_E18rocblas_is_complexIT1_EEiE4typeELi0EEEvPS7_llT2_lT0_lSC_b
; %bb.0:
	s_load_u16 s5, s[0:1], 0x4e
	s_bfe_u32 s2, ttmp6, 0x40010
	s_bfe_u32 s6, ttmp6, 0x40004
	s_add_co_i32 s4, s2, 1
	s_load_b64 s[2:3], s[0:1], 0x38
	s_mul_i32 s4, ttmp7, s4
	v_bfe_u32 v0, v0, 10, 10
	s_add_co_i32 s6, s6, s4
	s_getreg_b32 s4, hwreg(HW_REG_IB_STS2, 6, 4)
	s_delay_alu instid0(SALU_CYCLE_1) | instskip(SKIP_3) | instid1(VALU_DEP_1)
	s_cmp_eq_u32 s4, 0
	s_cselect_b32 s6, ttmp7, s6
	s_wait_kmcnt 0x0
	v_mad_u32 v0, s6, s5, v0
	v_cmp_gt_i32_e32 vcc_lo, s2, v0
	s_and_saveexec_b32 s2, vcc_lo
	s_cbranch_execz .LBB26_2
; %bb.1:
	s_load_b256 s[8:15], s[0:1], 0x0
	s_bitcmp1_b32 s3, 0
	s_cselect_b32 s16, -1, 0
	s_bfe_u32 s2, ttmp6, 0x4000c
	s_and_b32 s3, ttmp6, 15
	s_add_co_i32 s2, s2, 1
	s_delay_alu instid0(SALU_CYCLE_1) | instskip(NEXT) | instid1(SALU_CYCLE_1)
	s_mul_i32 s2, ttmp9, s2
	s_add_co_i32 s3, s3, s2
	s_cmp_eq_u32 s4, 0
	s_wait_xcnt 0x0
	s_load_b96 s[0:2], s[0:1], 0x20
	s_cselect_b32 s4, ttmp9, s3
	s_delay_alu instid0(SALU_CYCLE_1) | instskip(NEXT) | instid1(SALU_CYCLE_1)
	s_ashr_i32 s5, s4, 31
	s_lshl_b64 s[6:7], s[4:5], 3
	s_wait_kmcnt 0x0
	s_add_nc_u64 s[6:7], s[14:15], s[6:7]
	s_load_b64 s[6:7], s[6:7], 0x0
	v_mad_u32 v1, v0, s2, v0
	s_lshl_b64 s[0:1], s[0:1], 3
	s_mul_u64 s[2:3], s[12:13], s[4:5]
	s_lshl_b64 s[4:5], s[10:11], 3
	s_lshl_b64 s[2:3], s[2:3], 3
	s_delay_alu instid0(SALU_CYCLE_1) | instskip(NEXT) | instid1(SALU_CYCLE_1)
	s_add_nc_u64 s[2:3], s[8:9], s[2:3]
	s_add_nc_u64 s[2:3], s[2:3], s[4:5]
	s_wait_kmcnt 0x0
	s_add_nc_u64 s[0:1], s[6:7], s[0:1]
	flat_load_b64 v[2:3], v1, s[0:1] scale_offset
	s_wait_loadcnt_dscnt 0x0
	v_cndmask_b32_e64 v5, v3, 0x3ff00000, s16
	v_cndmask_b32_e64 v4, v2, 0, s16
	global_store_b64 v0, v[2:3], s[2:3] scale_offset
	flat_store_b64 v1, v[4:5], s[0:1] scale_offset
.LBB26_2:
	s_endpgm
	.section	.rodata,"a",@progbits
	.p2align	6, 0x0
	.amdhsa_kernel _ZN9rocsolver6v33100L8set_diagIdidPKPdTnNSt9enable_ifIXoont18rocblas_is_complexIT_E18rocblas_is_complexIT1_EEiE4typeELi0EEEvPS7_llT2_lT0_lSC_b
		.amdhsa_group_segment_fixed_size 0
		.amdhsa_private_segment_fixed_size 0
		.amdhsa_kernarg_size 320
		.amdhsa_user_sgpr_count 2
		.amdhsa_user_sgpr_dispatch_ptr 0
		.amdhsa_user_sgpr_queue_ptr 0
		.amdhsa_user_sgpr_kernarg_segment_ptr 1
		.amdhsa_user_sgpr_dispatch_id 0
		.amdhsa_user_sgpr_kernarg_preload_length 0
		.amdhsa_user_sgpr_kernarg_preload_offset 0
		.amdhsa_user_sgpr_private_segment_size 0
		.amdhsa_wavefront_size32 1
		.amdhsa_uses_dynamic_stack 0
		.amdhsa_enable_private_segment 0
		.amdhsa_system_sgpr_workgroup_id_x 1
		.amdhsa_system_sgpr_workgroup_id_y 1
		.amdhsa_system_sgpr_workgroup_id_z 0
		.amdhsa_system_sgpr_workgroup_info 0
		.amdhsa_system_vgpr_workitem_id 1
		.amdhsa_next_free_vgpr 6
		.amdhsa_next_free_sgpr 17
		.amdhsa_named_barrier_count 0
		.amdhsa_reserve_vcc 1
		.amdhsa_float_round_mode_32 0
		.amdhsa_float_round_mode_16_64 0
		.amdhsa_float_denorm_mode_32 3
		.amdhsa_float_denorm_mode_16_64 3
		.amdhsa_fp16_overflow 0
		.amdhsa_memory_ordered 1
		.amdhsa_forward_progress 1
		.amdhsa_inst_pref_size 3
		.amdhsa_round_robin_scheduling 0
		.amdhsa_exception_fp_ieee_invalid_op 0
		.amdhsa_exception_fp_denorm_src 0
		.amdhsa_exception_fp_ieee_div_zero 0
		.amdhsa_exception_fp_ieee_overflow 0
		.amdhsa_exception_fp_ieee_underflow 0
		.amdhsa_exception_fp_ieee_inexact 0
		.amdhsa_exception_int_div_zero 0
	.end_amdhsa_kernel
	.section	.text._ZN9rocsolver6v33100L8set_diagIdidPKPdTnNSt9enable_ifIXoont18rocblas_is_complexIT_E18rocblas_is_complexIT1_EEiE4typeELi0EEEvPS7_llT2_lT0_lSC_b,"axG",@progbits,_ZN9rocsolver6v33100L8set_diagIdidPKPdTnNSt9enable_ifIXoont18rocblas_is_complexIT_E18rocblas_is_complexIT1_EEiE4typeELi0EEEvPS7_llT2_lT0_lSC_b,comdat
.Lfunc_end26:
	.size	_ZN9rocsolver6v33100L8set_diagIdidPKPdTnNSt9enable_ifIXoont18rocblas_is_complexIT_E18rocblas_is_complexIT1_EEiE4typeELi0EEEvPS7_llT2_lT0_lSC_b, .Lfunc_end26-_ZN9rocsolver6v33100L8set_diagIdidPKPdTnNSt9enable_ifIXoont18rocblas_is_complexIT_E18rocblas_is_complexIT1_EEiE4typeELi0EEEvPS7_llT2_lT0_lSC_b
                                        ; -- End function
	.set _ZN9rocsolver6v33100L8set_diagIdidPKPdTnNSt9enable_ifIXoont18rocblas_is_complexIT_E18rocblas_is_complexIT1_EEiE4typeELi0EEEvPS7_llT2_lT0_lSC_b.num_vgpr, 6
	.set _ZN9rocsolver6v33100L8set_diagIdidPKPdTnNSt9enable_ifIXoont18rocblas_is_complexIT_E18rocblas_is_complexIT1_EEiE4typeELi0EEEvPS7_llT2_lT0_lSC_b.num_agpr, 0
	.set _ZN9rocsolver6v33100L8set_diagIdidPKPdTnNSt9enable_ifIXoont18rocblas_is_complexIT_E18rocblas_is_complexIT1_EEiE4typeELi0EEEvPS7_llT2_lT0_lSC_b.numbered_sgpr, 17
	.set _ZN9rocsolver6v33100L8set_diagIdidPKPdTnNSt9enable_ifIXoont18rocblas_is_complexIT_E18rocblas_is_complexIT1_EEiE4typeELi0EEEvPS7_llT2_lT0_lSC_b.num_named_barrier, 0
	.set _ZN9rocsolver6v33100L8set_diagIdidPKPdTnNSt9enable_ifIXoont18rocblas_is_complexIT_E18rocblas_is_complexIT1_EEiE4typeELi0EEEvPS7_llT2_lT0_lSC_b.private_seg_size, 0
	.set _ZN9rocsolver6v33100L8set_diagIdidPKPdTnNSt9enable_ifIXoont18rocblas_is_complexIT_E18rocblas_is_complexIT1_EEiE4typeELi0EEEvPS7_llT2_lT0_lSC_b.uses_vcc, 1
	.set _ZN9rocsolver6v33100L8set_diagIdidPKPdTnNSt9enable_ifIXoont18rocblas_is_complexIT_E18rocblas_is_complexIT1_EEiE4typeELi0EEEvPS7_llT2_lT0_lSC_b.uses_flat_scratch, 0
	.set _ZN9rocsolver6v33100L8set_diagIdidPKPdTnNSt9enable_ifIXoont18rocblas_is_complexIT_E18rocblas_is_complexIT1_EEiE4typeELi0EEEvPS7_llT2_lT0_lSC_b.has_dyn_sized_stack, 0
	.set _ZN9rocsolver6v33100L8set_diagIdidPKPdTnNSt9enable_ifIXoont18rocblas_is_complexIT_E18rocblas_is_complexIT1_EEiE4typeELi0EEEvPS7_llT2_lT0_lSC_b.has_recursion, 0
	.set _ZN9rocsolver6v33100L8set_diagIdidPKPdTnNSt9enable_ifIXoont18rocblas_is_complexIT_E18rocblas_is_complexIT1_EEiE4typeELi0EEEvPS7_llT2_lT0_lSC_b.has_indirect_call, 0
	.section	.AMDGPU.csdata,"",@progbits
; Kernel info:
; codeLenInByte = 292
; TotalNumSgprs: 19
; NumVgprs: 6
; ScratchSize: 0
; MemoryBound: 0
; FloatMode: 240
; IeeeMode: 1
; LDSByteSize: 0 bytes/workgroup (compile time only)
; SGPRBlocks: 0
; VGPRBlocks: 0
; NumSGPRsForWavesPerEU: 19
; NumVGPRsForWavesPerEU: 6
; NamedBarCnt: 0
; Occupancy: 16
; WaveLimiterHint : 1
; COMPUTE_PGM_RSRC2:SCRATCH_EN: 0
; COMPUTE_PGM_RSRC2:USER_SGPR: 2
; COMPUTE_PGM_RSRC2:TRAP_HANDLER: 0
; COMPUTE_PGM_RSRC2:TGID_X_EN: 1
; COMPUTE_PGM_RSRC2:TGID_Y_EN: 1
; COMPUTE_PGM_RSRC2:TGID_Z_EN: 0
; COMPUTE_PGM_RSRC2:TIDIG_COMP_CNT: 1
	.section	.text._ZN9rocsolver6v33100L11set_taubetaIdidPKPdEEvPT_lS6_T2_llPT1_ll,"axG",@progbits,_ZN9rocsolver6v33100L11set_taubetaIdidPKPdEEvPT_lS6_T2_llPT1_ll,comdat
	.globl	_ZN9rocsolver6v33100L11set_taubetaIdidPKPdEEvPT_lS6_T2_llPT1_ll ; -- Begin function _ZN9rocsolver6v33100L11set_taubetaIdidPKPdEEvPT_lS6_T2_llPT1_ll
	.p2align	8
	.type	_ZN9rocsolver6v33100L11set_taubetaIdidPKPdEEvPT_lS6_T2_llPT1_ll,@function
_ZN9rocsolver6v33100L11set_taubetaIdidPKPdEEvPT_lS6_T2_llPT1_ll: ; @_ZN9rocsolver6v33100L11set_taubetaIdidPKPdEEvPT_lS6_T2_llPT1_ll
; %bb.0:
	s_load_b256 s[4:11], s[0:1], 0x0
	s_bfe_u32 s2, ttmp6, 0x4000c
	s_and_b32 s3, ttmp6, 15
	s_add_co_i32 s2, s2, 1
	s_getreg_b32 s12, hwreg(HW_REG_IB_STS2, 6, 4)
	s_mul_i32 s2, ttmp9, s2
	s_mov_b32 s24, 0
	s_add_co_i32 s3, s3, s2
	s_cmp_eq_u32 s12, 0
	s_load_b128 s[12:15], s[0:1], 0x30
	s_cselect_b32 s16, ttmp9, s3
	s_delay_alu instid0(SALU_CYCLE_1) | instskip(NEXT) | instid1(SALU_CYCLE_1)
	s_ashr_i32 s17, s16, 31
	s_lshl_b64 s[22:23], s[16:17], 3
	s_wait_kmcnt 0x0
	s_add_nc_u64 s[2:3], s[10:11], s[22:23]
	s_load_b64 s[20:21], s[0:1], 0x20
	s_load_b64 s[18:19], s[2:3], 0x0
	s_wait_xcnt 0x0
	s_mov_b64 s[2:3], 0
	s_cmp_eq_u64 s[12:13], 0
	s_cbranch_scc1 .LBB27_2
; %bb.1:
	s_load_b64 s[0:1], s[0:1], 0x40
	s_lshl_b64 s[2:3], s[14:15], 3
	s_wait_kmcnt 0x0
	s_mul_u64 s[0:1], s[0:1], s[16:17]
	s_delay_alu instid0(SALU_CYCLE_1) | instskip(NEXT) | instid1(SALU_CYCLE_1)
	s_lshl_b64 s[0:1], s[0:1], 3
	s_add_nc_u64 s[0:1], s[12:13], s[0:1]
	s_delay_alu instid0(SALU_CYCLE_1)
	s_add_nc_u64 s[2:3], s[0:1], s[2:3]
.LBB27_2:
	s_add_nc_u64 s[8:9], s[8:9], s[22:23]
	s_mul_u64 s[0:1], s[6:7], s[16:17]
	s_load_b64 s[10:11], s[8:9], 0x0
	s_wait_kmcnt 0x0
	s_lshl_b64 s[12:13], s[20:21], 3
	s_lshl_b64 s[14:15], s[0:1], 3
	s_cmp_eq_u64 s[2:3], 0
	s_add_nc_u64 s[0:1], s[18:19], s[12:13]
	s_cselect_b32 s6, -1, 0
	s_cmp_lg_u64 s[2:3], 0
	s_add_nc_u64 s[4:5], s[4:5], s[14:15]
	s_cselect_b32 s7, -1, 0
	v_cmp_ngt_f64_e64 s22, s[10:11], 0
	s_and_b32 vcc_lo, exec_lo, s22
	s_cbranch_vccz .LBB27_7
; %bb.3:
	v_mov_b64_e32 v[4:5], 1.0
	v_mov_b64_e32 v[6:7], 0
	v_mov_b32_e32 v2, 0
	s_mov_b32 s12, 0
	s_and_b32 vcc_lo, exec_lo, s7
                                        ; implicit-def: $vgpr0_vgpr1
	s_clause 0x1
	global_store_b64 v2, v[4:5], s[8:9]
	global_store_b64 v2, v[6:7], s[4:5]
	s_cbranch_vccz .LBB27_5
; %bb.4:
	flat_load_b64 v[0:1], v2, s[0:1]
	s_mov_b32 s24, -1
.LBB27_5:
	s_and_b32 vcc_lo, exec_lo, s12
	s_cbranch_vccz .LBB27_8
.LBB27_6:
	v_mov_b32_e32 v12, 0
	s_mov_b32 s24, s7
	flat_load_b64 v[2:3], v12, s[0:1]
	s_wait_loadcnt_dscnt 0x0
	v_fma_f64 v[0:1], v[2:3], v[2:3], s[10:11]
	s_delay_alu instid0(VALU_DEP_1) | instskip(SKIP_1) | instid1(VALU_DEP_1)
	v_cmp_gt_f64_e32 vcc_lo, 0x10000000, v[0:1]
	v_cndmask_b32_e64 v4, 0, 0x100, vcc_lo
	v_ldexp_f64 v[0:1], v[0:1], v4
	s_delay_alu instid0(VALU_DEP_1) | instskip(SKIP_1) | instid1(TRANS32_DEP_1)
	v_rsq_f64_e32 v[4:5], v[0:1]
	v_nop
	v_mul_f64_e32 v[6:7], v[0:1], v[4:5]
	v_mul_f64_e32 v[4:5], 0.5, v[4:5]
	s_delay_alu instid0(VALU_DEP_1) | instskip(NEXT) | instid1(VALU_DEP_1)
	v_fma_f64 v[8:9], -v[4:5], v[6:7], 0.5
	v_fmac_f64_e32 v[6:7], v[6:7], v[8:9]
	v_fmac_f64_e32 v[4:5], v[4:5], v[8:9]
	s_delay_alu instid0(VALU_DEP_2) | instskip(NEXT) | instid1(VALU_DEP_1)
	v_fma_f64 v[8:9], -v[6:7], v[6:7], v[0:1]
	v_fmac_f64_e32 v[6:7], v[8:9], v[4:5]
	s_delay_alu instid0(VALU_DEP_1) | instskip(NEXT) | instid1(VALU_DEP_1)
	v_fma_f64 v[8:9], -v[6:7], v[6:7], v[0:1]
	v_fmac_f64_e32 v[6:7], v[8:9], v[4:5]
	v_cndmask_b32_e64 v4, 0, 0xffffff80, vcc_lo
	v_cmp_class_f64_e64 vcc_lo, v[0:1], 0x260
	s_delay_alu instid0(VALU_DEP_2) | instskip(NEXT) | instid1(VALU_DEP_1)
	v_ldexp_f64 v[4:5], v[6:7], v4
	v_dual_cndmask_b32 v0, v4, v0 :: v_dual_cndmask_b32 v1, v5, v1
	v_cmp_le_f64_e32 vcc_lo, 0, v[2:3]
	s_delay_alu instid0(VALU_DEP_2) | instskip(NEXT) | instid1(VALU_DEP_1)
	v_xor_b32_e32 v4, 0x80000000, v1
	v_cndmask_b32_e32 v1, v1, v4, vcc_lo
	s_delay_alu instid0(VALU_DEP_1) | instskip(NEXT) | instid1(VALU_DEP_1)
	v_add_f64_e64 v[2:3], v[2:3], -v[0:1]
	v_div_scale_f64 v[4:5], null, v[2:3], v[2:3], 1.0
	v_div_scale_f64 v[10:11], vcc_lo, 1.0, v[2:3], 1.0
	s_delay_alu instid0(VALU_DEP_2) | instskip(SKIP_1) | instid1(TRANS32_DEP_1)
	v_rcp_f64_e32 v[6:7], v[4:5]
	v_nop
	v_fma_f64 v[8:9], -v[4:5], v[6:7], 1.0
	s_delay_alu instid0(VALU_DEP_1) | instskip(NEXT) | instid1(VALU_DEP_1)
	v_fmac_f64_e32 v[6:7], v[6:7], v[8:9]
	v_fma_f64 v[8:9], -v[4:5], v[6:7], 1.0
	s_delay_alu instid0(VALU_DEP_1) | instskip(NEXT) | instid1(VALU_DEP_1)
	v_fmac_f64_e32 v[6:7], v[6:7], v[8:9]
	v_mul_f64_e32 v[8:9], v[10:11], v[6:7]
	s_delay_alu instid0(VALU_DEP_1) | instskip(NEXT) | instid1(VALU_DEP_1)
	v_fma_f64 v[4:5], -v[4:5], v[8:9], v[10:11]
	v_div_fmas_f64 v[4:5], v[4:5], v[6:7], v[8:9]
	s_delay_alu instid0(VALU_DEP_1) | instskip(SKIP_4) | instid1(VALU_DEP_1)
	v_div_fixup_f64 v[2:3], v[4:5], v[2:3], 1.0
	global_store_b64 v12, v[2:3], s[8:9]
	flat_load_b64 v[2:3], v12, s[0:1]
	s_wait_loadcnt_dscnt 0x0
	v_add_f64_e64 v[2:3], v[0:1], -v[2:3]
	v_div_scale_f64 v[4:5], null, v[0:1], v[0:1], v[2:3]
	s_delay_alu instid0(VALU_DEP_1) | instskip(SKIP_1) | instid1(TRANS32_DEP_1)
	v_rcp_f64_e32 v[6:7], v[4:5]
	v_nop
	v_fma_f64 v[8:9], -v[4:5], v[6:7], 1.0
	s_delay_alu instid0(VALU_DEP_1) | instskip(NEXT) | instid1(VALU_DEP_1)
	v_fmac_f64_e32 v[6:7], v[6:7], v[8:9]
	v_fma_f64 v[8:9], -v[4:5], v[6:7], 1.0
	s_delay_alu instid0(VALU_DEP_1) | instskip(SKIP_1) | instid1(VALU_DEP_1)
	v_fmac_f64_e32 v[6:7], v[6:7], v[8:9]
	v_div_scale_f64 v[8:9], vcc_lo, v[2:3], v[0:1], v[2:3]
	v_mul_f64_e32 v[10:11], v[8:9], v[6:7]
	s_delay_alu instid0(VALU_DEP_1) | instskip(NEXT) | instid1(VALU_DEP_1)
	v_fma_f64 v[4:5], -v[4:5], v[10:11], v[8:9]
	v_div_fmas_f64 v[4:5], v[4:5], v[6:7], v[10:11]
	s_delay_alu instid0(VALU_DEP_1)
	v_div_fixup_f64 v[2:3], v[4:5], v[0:1], v[2:3]
	global_store_b64 v12, v[2:3], s[4:5]
	s_and_not1_b32 vcc_lo, exec_lo, s24
	s_cbranch_vccz .LBB27_9
	s_branch .LBB27_10
.LBB27_7:
                                        ; implicit-def: $vgpr0_vgpr1
	s_cbranch_execnz .LBB27_6
.LBB27_8:
	s_mov_b32 s6, 0
	s_and_not1_b32 vcc_lo, exec_lo, s24
	s_cbranch_vccnz .LBB27_10
.LBB27_9:
	s_wait_xcnt 0x0
	v_mov_b32_e32 v2, 0
	s_mov_b32 s6, -1
	s_wait_loadcnt_dscnt 0x0
	global_store_b64 v2, v[0:1], s[2:3]
	s_wait_xcnt 0x0
	v_mov_b64_e32 v[0:1], 1.0
.LBB27_10:
	s_and_not1_b32 vcc_lo, exec_lo, s6
	s_cbranch_vccz .LBB27_12
; %bb.11:
	s_endpgm
.LBB27_12:
	s_wait_xcnt 0x0
	v_mov_b32_e32 v2, 0
	s_wait_loadcnt_dscnt 0x0
	flat_store_b64 v2, v[0:1], s[0:1]
	s_endpgm
	.section	.rodata,"a",@progbits
	.p2align	6, 0x0
	.amdhsa_kernel _ZN9rocsolver6v33100L11set_taubetaIdidPKPdEEvPT_lS6_T2_llPT1_ll
		.amdhsa_group_segment_fixed_size 0
		.amdhsa_private_segment_fixed_size 0
		.amdhsa_kernarg_size 72
		.amdhsa_user_sgpr_count 2
		.amdhsa_user_sgpr_dispatch_ptr 0
		.amdhsa_user_sgpr_queue_ptr 0
		.amdhsa_user_sgpr_kernarg_segment_ptr 1
		.amdhsa_user_sgpr_dispatch_id 0
		.amdhsa_user_sgpr_kernarg_preload_length 0
		.amdhsa_user_sgpr_kernarg_preload_offset 0
		.amdhsa_user_sgpr_private_segment_size 0
		.amdhsa_wavefront_size32 1
		.amdhsa_uses_dynamic_stack 0
		.amdhsa_enable_private_segment 0
		.amdhsa_system_sgpr_workgroup_id_x 1
		.amdhsa_system_sgpr_workgroup_id_y 0
		.amdhsa_system_sgpr_workgroup_id_z 0
		.amdhsa_system_sgpr_workgroup_info 0
		.amdhsa_system_vgpr_workitem_id 0
		.amdhsa_next_free_vgpr 13
		.amdhsa_next_free_sgpr 25
		.amdhsa_named_barrier_count 0
		.amdhsa_reserve_vcc 1
		.amdhsa_float_round_mode_32 0
		.amdhsa_float_round_mode_16_64 0
		.amdhsa_float_denorm_mode_32 3
		.amdhsa_float_denorm_mode_16_64 3
		.amdhsa_fp16_overflow 0
		.amdhsa_memory_ordered 1
		.amdhsa_forward_progress 1
		.amdhsa_inst_pref_size 7
		.amdhsa_round_robin_scheduling 0
		.amdhsa_exception_fp_ieee_invalid_op 0
		.amdhsa_exception_fp_denorm_src 0
		.amdhsa_exception_fp_ieee_div_zero 0
		.amdhsa_exception_fp_ieee_overflow 0
		.amdhsa_exception_fp_ieee_underflow 0
		.amdhsa_exception_fp_ieee_inexact 0
		.amdhsa_exception_int_div_zero 0
	.end_amdhsa_kernel
	.section	.text._ZN9rocsolver6v33100L11set_taubetaIdidPKPdEEvPT_lS6_T2_llPT1_ll,"axG",@progbits,_ZN9rocsolver6v33100L11set_taubetaIdidPKPdEEvPT_lS6_T2_llPT1_ll,comdat
.Lfunc_end27:
	.size	_ZN9rocsolver6v33100L11set_taubetaIdidPKPdEEvPT_lS6_T2_llPT1_ll, .Lfunc_end27-_ZN9rocsolver6v33100L11set_taubetaIdidPKPdEEvPT_lS6_T2_llPT1_ll
                                        ; -- End function
	.set _ZN9rocsolver6v33100L11set_taubetaIdidPKPdEEvPT_lS6_T2_llPT1_ll.num_vgpr, 13
	.set _ZN9rocsolver6v33100L11set_taubetaIdidPKPdEEvPT_lS6_T2_llPT1_ll.num_agpr, 0
	.set _ZN9rocsolver6v33100L11set_taubetaIdidPKPdEEvPT_lS6_T2_llPT1_ll.numbered_sgpr, 25
	.set _ZN9rocsolver6v33100L11set_taubetaIdidPKPdEEvPT_lS6_T2_llPT1_ll.num_named_barrier, 0
	.set _ZN9rocsolver6v33100L11set_taubetaIdidPKPdEEvPT_lS6_T2_llPT1_ll.private_seg_size, 0
	.set _ZN9rocsolver6v33100L11set_taubetaIdidPKPdEEvPT_lS6_T2_llPT1_ll.uses_vcc, 1
	.set _ZN9rocsolver6v33100L11set_taubetaIdidPKPdEEvPT_lS6_T2_llPT1_ll.uses_flat_scratch, 0
	.set _ZN9rocsolver6v33100L11set_taubetaIdidPKPdEEvPT_lS6_T2_llPT1_ll.has_dyn_sized_stack, 0
	.set _ZN9rocsolver6v33100L11set_taubetaIdidPKPdEEvPT_lS6_T2_llPT1_ll.has_recursion, 0
	.set _ZN9rocsolver6v33100L11set_taubetaIdidPKPdEEvPT_lS6_T2_llPT1_ll.has_indirect_call, 0
	.section	.AMDGPU.csdata,"",@progbits
; Kernel info:
; codeLenInByte = 848
; TotalNumSgprs: 27
; NumVgprs: 13
; ScratchSize: 0
; MemoryBound: 0
; FloatMode: 240
; IeeeMode: 1
; LDSByteSize: 0 bytes/workgroup (compile time only)
; SGPRBlocks: 0
; VGPRBlocks: 0
; NumSGPRsForWavesPerEU: 27
; NumVGPRsForWavesPerEU: 13
; NamedBarCnt: 0
; Occupancy: 16
; WaveLimiterHint : 1
; COMPUTE_PGM_RSRC2:SCRATCH_EN: 0
; COMPUTE_PGM_RSRC2:USER_SGPR: 2
; COMPUTE_PGM_RSRC2:TRAP_HANDLER: 0
; COMPUTE_PGM_RSRC2:TGID_X_EN: 1
; COMPUTE_PGM_RSRC2:TGID_Y_EN: 0
; COMPUTE_PGM_RSRC2:TGID_Z_EN: 0
; COMPUTE_PGM_RSRC2:TIDIG_COMP_CNT: 0
	.section	.text._ZN9rocsolver6v33100L13conj_in_placeIdiPdTnNSt9enable_ifIXnt18rocblas_is_complexIT_EEiE4typeELi0EEEvT0_S7_T1_lS7_l,"axG",@progbits,_ZN9rocsolver6v33100L13conj_in_placeIdiPdTnNSt9enable_ifIXnt18rocblas_is_complexIT_EEiE4typeELi0EEEvT0_S7_T1_lS7_l,comdat
	.globl	_ZN9rocsolver6v33100L13conj_in_placeIdiPdTnNSt9enable_ifIXnt18rocblas_is_complexIT_EEiE4typeELi0EEEvT0_S7_T1_lS7_l ; -- Begin function _ZN9rocsolver6v33100L13conj_in_placeIdiPdTnNSt9enable_ifIXnt18rocblas_is_complexIT_EEiE4typeELi0EEEvT0_S7_T1_lS7_l
	.p2align	8
	.type	_ZN9rocsolver6v33100L13conj_in_placeIdiPdTnNSt9enable_ifIXnt18rocblas_is_complexIT_EEiE4typeELi0EEEvT0_S7_T1_lS7_l,@function
_ZN9rocsolver6v33100L13conj_in_placeIdiPdTnNSt9enable_ifIXnt18rocblas_is_complexIT_EEiE4typeELi0EEEvT0_S7_T1_lS7_l: ; @_ZN9rocsolver6v33100L13conj_in_placeIdiPdTnNSt9enable_ifIXnt18rocblas_is_complexIT_EEiE4typeELi0EEEvT0_S7_T1_lS7_l
; %bb.0:
	s_endpgm
	.section	.rodata,"a",@progbits
	.p2align	6, 0x0
	.amdhsa_kernel _ZN9rocsolver6v33100L13conj_in_placeIdiPdTnNSt9enable_ifIXnt18rocblas_is_complexIT_EEiE4typeELi0EEEvT0_S7_T1_lS7_l
		.amdhsa_group_segment_fixed_size 0
		.amdhsa_private_segment_fixed_size 0
		.amdhsa_kernarg_size 40
		.amdhsa_user_sgpr_count 2
		.amdhsa_user_sgpr_dispatch_ptr 0
		.amdhsa_user_sgpr_queue_ptr 0
		.amdhsa_user_sgpr_kernarg_segment_ptr 1
		.amdhsa_user_sgpr_dispatch_id 0
		.amdhsa_user_sgpr_kernarg_preload_length 0
		.amdhsa_user_sgpr_kernarg_preload_offset 0
		.amdhsa_user_sgpr_private_segment_size 0
		.amdhsa_wavefront_size32 1
		.amdhsa_uses_dynamic_stack 0
		.amdhsa_enable_private_segment 0
		.amdhsa_system_sgpr_workgroup_id_x 1
		.amdhsa_system_sgpr_workgroup_id_y 0
		.amdhsa_system_sgpr_workgroup_id_z 0
		.amdhsa_system_sgpr_workgroup_info 0
		.amdhsa_system_vgpr_workitem_id 0
		.amdhsa_next_free_vgpr 1
		.amdhsa_next_free_sgpr 1
		.amdhsa_named_barrier_count 0
		.amdhsa_reserve_vcc 0
		.amdhsa_float_round_mode_32 0
		.amdhsa_float_round_mode_16_64 0
		.amdhsa_float_denorm_mode_32 3
		.amdhsa_float_denorm_mode_16_64 3
		.amdhsa_fp16_overflow 0
		.amdhsa_memory_ordered 1
		.amdhsa_forward_progress 1
		.amdhsa_inst_pref_size 1
		.amdhsa_round_robin_scheduling 0
		.amdhsa_exception_fp_ieee_invalid_op 0
		.amdhsa_exception_fp_denorm_src 0
		.amdhsa_exception_fp_ieee_div_zero 0
		.amdhsa_exception_fp_ieee_overflow 0
		.amdhsa_exception_fp_ieee_underflow 0
		.amdhsa_exception_fp_ieee_inexact 0
		.amdhsa_exception_int_div_zero 0
	.end_amdhsa_kernel
	.section	.text._ZN9rocsolver6v33100L13conj_in_placeIdiPdTnNSt9enable_ifIXnt18rocblas_is_complexIT_EEiE4typeELi0EEEvT0_S7_T1_lS7_l,"axG",@progbits,_ZN9rocsolver6v33100L13conj_in_placeIdiPdTnNSt9enable_ifIXnt18rocblas_is_complexIT_EEiE4typeELi0EEEvT0_S7_T1_lS7_l,comdat
.Lfunc_end28:
	.size	_ZN9rocsolver6v33100L13conj_in_placeIdiPdTnNSt9enable_ifIXnt18rocblas_is_complexIT_EEiE4typeELi0EEEvT0_S7_T1_lS7_l, .Lfunc_end28-_ZN9rocsolver6v33100L13conj_in_placeIdiPdTnNSt9enable_ifIXnt18rocblas_is_complexIT_EEiE4typeELi0EEEvT0_S7_T1_lS7_l
                                        ; -- End function
	.set _ZN9rocsolver6v33100L13conj_in_placeIdiPdTnNSt9enable_ifIXnt18rocblas_is_complexIT_EEiE4typeELi0EEEvT0_S7_T1_lS7_l.num_vgpr, 0
	.set _ZN9rocsolver6v33100L13conj_in_placeIdiPdTnNSt9enable_ifIXnt18rocblas_is_complexIT_EEiE4typeELi0EEEvT0_S7_T1_lS7_l.num_agpr, 0
	.set _ZN9rocsolver6v33100L13conj_in_placeIdiPdTnNSt9enable_ifIXnt18rocblas_is_complexIT_EEiE4typeELi0EEEvT0_S7_T1_lS7_l.numbered_sgpr, 0
	.set _ZN9rocsolver6v33100L13conj_in_placeIdiPdTnNSt9enable_ifIXnt18rocblas_is_complexIT_EEiE4typeELi0EEEvT0_S7_T1_lS7_l.num_named_barrier, 0
	.set _ZN9rocsolver6v33100L13conj_in_placeIdiPdTnNSt9enable_ifIXnt18rocblas_is_complexIT_EEiE4typeELi0EEEvT0_S7_T1_lS7_l.private_seg_size, 0
	.set _ZN9rocsolver6v33100L13conj_in_placeIdiPdTnNSt9enable_ifIXnt18rocblas_is_complexIT_EEiE4typeELi0EEEvT0_S7_T1_lS7_l.uses_vcc, 0
	.set _ZN9rocsolver6v33100L13conj_in_placeIdiPdTnNSt9enable_ifIXnt18rocblas_is_complexIT_EEiE4typeELi0EEEvT0_S7_T1_lS7_l.uses_flat_scratch, 0
	.set _ZN9rocsolver6v33100L13conj_in_placeIdiPdTnNSt9enable_ifIXnt18rocblas_is_complexIT_EEiE4typeELi0EEEvT0_S7_T1_lS7_l.has_dyn_sized_stack, 0
	.set _ZN9rocsolver6v33100L13conj_in_placeIdiPdTnNSt9enable_ifIXnt18rocblas_is_complexIT_EEiE4typeELi0EEEvT0_S7_T1_lS7_l.has_recursion, 0
	.set _ZN9rocsolver6v33100L13conj_in_placeIdiPdTnNSt9enable_ifIXnt18rocblas_is_complexIT_EEiE4typeELi0EEEvT0_S7_T1_lS7_l.has_indirect_call, 0
	.section	.AMDGPU.csdata,"",@progbits
; Kernel info:
; codeLenInByte = 4
; TotalNumSgprs: 0
; NumVgprs: 0
; ScratchSize: 0
; MemoryBound: 0
; FloatMode: 240
; IeeeMode: 1
; LDSByteSize: 0 bytes/workgroup (compile time only)
; SGPRBlocks: 0
; VGPRBlocks: 0
; NumSGPRsForWavesPerEU: 1
; NumVGPRsForWavesPerEU: 1
; NamedBarCnt: 0
; Occupancy: 16
; WaveLimiterHint : 0
; COMPUTE_PGM_RSRC2:SCRATCH_EN: 0
; COMPUTE_PGM_RSRC2:USER_SGPR: 2
; COMPUTE_PGM_RSRC2:TRAP_HANDLER: 0
; COMPUTE_PGM_RSRC2:TGID_X_EN: 1
; COMPUTE_PGM_RSRC2:TGID_Y_EN: 0
; COMPUTE_PGM_RSRC2:TGID_Z_EN: 0
; COMPUTE_PGM_RSRC2:TIDIG_COMP_CNT: 0
	.section	.text._ZN9rocsolver6v33100L16larf_left_kernelILi1024EdiPKPdEEvT1_S5_T2_lS5_lPKT0_lS6_lS5_l,"axG",@progbits,_ZN9rocsolver6v33100L16larf_left_kernelILi1024EdiPKPdEEvT1_S5_T2_lS5_lPKT0_lS6_lS5_l,comdat
	.globl	_ZN9rocsolver6v33100L16larf_left_kernelILi1024EdiPKPdEEvT1_S5_T2_lS5_lPKT0_lS6_lS5_l ; -- Begin function _ZN9rocsolver6v33100L16larf_left_kernelILi1024EdiPKPdEEvT1_S5_T2_lS5_lPKT0_lS6_lS5_l
	.p2align	8
	.type	_ZN9rocsolver6v33100L16larf_left_kernelILi1024EdiPKPdEEvT1_S5_T2_lS5_lPKT0_lS6_lS5_l,@function
_ZN9rocsolver6v33100L16larf_left_kernelILi1024EdiPKPdEEvT1_S5_T2_lS5_lPKT0_lS6_lS5_l: ; @_ZN9rocsolver6v33100L16larf_left_kernelILi1024EdiPKPdEEvT1_S5_T2_lS5_lPKT0_lS6_lS5_l
; %bb.0:
	s_clause 0x1
	s_load_b32 s14, s[0:1], 0x48
	s_load_b256 s[4:11], s[0:1], 0x28
	s_bfe_u32 s2, ttmp6, 0x40010
	s_bfe_u32 s13, ttmp6, 0x40014
	s_and_b32 s17, ttmp7, 0xffff
	s_lshr_b32 s12, ttmp7, 16
	s_add_co_i32 s2, s2, 1
	s_add_co_i32 s13, s13, 1
	s_bfe_u32 s3, ttmp6, 0x40004
	s_bfe_u32 s18, ttmp6, 0x40008
	s_mul_i32 s2, s17, s2
	s_mul_i32 s13, s12, s13
	s_getreg_b32 s19, hwreg(HW_REG_IB_STS2, 6, 4)
	s_load_b32 s16, s[0:1], 0x0
	s_add_co_i32 s20, s3, s2
	s_add_co_i32 s18, s18, s13
	v_mov_b64_e32 v[4:5], 0
	s_mov_b32 s13, 0
	v_lshlrev_b32_e32 v2, 3, v0
	s_wait_kmcnt 0x0
	s_ashr_i32 s15, s14, 31
	s_cmp_eq_u32 s19, 0
	s_cselect_b32 s12, s12, s18
	s_load_b64 s[2:3], s[8:9], s12 offset:0x0 scale_offset
	s_wait_xcnt 0x0
	s_cselect_b32 s8, s17, s20
	s_mov_b32 s9, s13
	s_delay_alu instid0(SALU_CYCLE_1)
	s_mul_u64 s[8:9], s[8:9], s[14:15]
	v_cmp_gt_i32_e32 vcc_lo, s16, v0
	s_and_saveexec_b32 s17, vcc_lo
	s_cbranch_execz .LBB29_6
; %bb.1:
	s_clause 0x1
	s_load_b32 s14, s[0:1], 0x18
	s_load_b128 s[20:23], s[0:1], 0x8
	v_dual_mov_b32 v1, 0 :: v_dual_mov_b32 v6, v0
	s_sub_co_i32 s19, 1, s16
	s_wait_kmcnt 0x0
	s_ashr_i32 s15, s14, 31
	s_load_b64 s[0:1], s[20:21], s12 offset:0x0 scale_offset
	v_mul_u64_e32 v[4:5], s[14:15], v[0:1]
	v_cmp_lt_i64_e64 s18, s[14:15], 1
	s_mul_i32 s19, s14, s19
	v_add3_u32 v1, v2, 0, 0x100
	s_delay_alu instid0(VALU_DEP_1)
	v_mov_b32_e32 v3, v1
	s_and_b32 s18, s18, exec_lo
	s_cselect_b32 s18, s19, 0
	s_wait_xcnt 0x0
	s_lshl_b64 s[20:21], s[22:23], 3
	s_ashr_i32 s19, s18, 31
	s_lshl_b64 s[14:15], s[14:15], 13
	s_lshl_b64 s[18:19], s[18:19], 3
	s_wait_kmcnt 0x0
	s_add_nc_u64 s[0:1], s[0:1], s[18:19]
	s_delay_alu instid0(SALU_CYCLE_1) | instskip(NEXT) | instid1(SALU_CYCLE_1)
	s_add_nc_u64 s[0:1], s[0:1], s[20:21]
	v_lshl_add_u64 v[4:5], v[4:5], 3, s[0:1]
	s_mov_b32 s1, s13
.LBB29_2:                               ; =>This Inner Loop Header: Depth=1
	flat_load_b64 v[8:9], v[4:5]
	v_add_nc_u32_e32 v6, 0x400, v6
	s_wait_xcnt 0x0
	v_add_nc_u64_e32 v[4:5], s[14:15], v[4:5]
	s_delay_alu instid0(VALU_DEP_2)
	v_cmp_le_i32_e64 s0, s16, v6
	s_or_b32 s1, s0, s1
	s_wait_loadcnt_dscnt 0x0
	ds_store_b64 v3, v[8:9]
	v_add_nc_u32_e32 v3, 0x2000, v3
	s_and_not1_b32 exec_lo, exec_lo, s1
	s_cbranch_execnz .LBB29_2
; %bb.3:
	s_or_b32 exec_lo, exec_lo, s1
	s_lshl_b64 s[0:1], s[8:9], 3
	s_lshl_b64 s[14:15], s[10:11], 3
	v_dual_mov_b32 v5, 0 :: v_dual_lshlrev_b32 v4, 3, v0
	s_add_nc_u64 s[0:1], s[0:1], s[14:15]
	v_mov_b32_e32 v3, v0
	s_add_nc_u64 s[0:1], s[2:3], s[0:1]
	s_delay_alu instid0(VALU_DEP_2) | instid1(SALU_CYCLE_1)
	v_add_nc_u64_e32 v[6:7], s[0:1], v[4:5]
	v_mov_b64_e32 v[4:5], 0
	s_mov_b32 s1, 0
.LBB29_4:                               ; =>This Inner Loop Header: Depth=1
	flat_load_b64 v[8:9], v[6:7]
	ds_load_b64 v[10:11], v1
	v_add_nc_u32_e32 v3, 0x400, v3
	s_wait_xcnt 0x0
	v_add_nc_u64_e32 v[6:7], 0x2000, v[6:7]
	v_add_nc_u32_e32 v1, 0x2000, v1
	s_delay_alu instid0(VALU_DEP_3)
	v_cmp_le_i32_e64 s0, s16, v3
	s_or_b32 s1, s0, s1
	s_wait_loadcnt_dscnt 0x0
	v_fmac_f64_e32 v[4:5], v[8:9], v[10:11]
	s_and_not1_b32 exec_lo, exec_lo, s1
	s_cbranch_execnz .LBB29_4
; %bb.5:
	s_or_b32 exec_lo, exec_lo, s1
.LBB29_6:
	s_delay_alu instid0(SALU_CYCLE_1) | instskip(SKIP_2) | instid1(VALU_DEP_1)
	s_or_b32 exec_lo, exec_lo, s17
	v_mbcnt_lo_u32_b32 v1, -1, 0
	s_mov_b32 s1, exec_lo
	v_cmp_ne_u32_e64 s0, 31, v1
	s_delay_alu instid0(VALU_DEP_1) | instskip(SKIP_1) | instid1(VALU_DEP_2)
	v_add_co_ci_u32_e64 v3, null, 0, v1, s0
	v_cmp_gt_u32_e64 s0, 30, v1
	v_lshlrev_b32_e32 v3, 2, v3
	ds_bpermute_b32 v6, v3, v4
	ds_bpermute_b32 v7, v3, v5
	v_cndmask_b32_e64 v3, 0, 2, s0
	v_cmp_gt_u32_e64 s0, 28, v1
	s_delay_alu instid0(VALU_DEP_2)
	v_add_lshl_u32 v3, v3, v1, 2
	s_wait_dscnt 0x0
	v_add_f64_e32 v[4:5], v[4:5], v[6:7]
	ds_bpermute_b32 v6, v3, v4
	ds_bpermute_b32 v7, v3, v5
	v_cndmask_b32_e64 v3, 0, 4, s0
	v_cmp_gt_u32_e64 s0, 24, v1
	s_delay_alu instid0(VALU_DEP_2)
	v_add_lshl_u32 v3, v3, v1, 2
	s_wait_dscnt 0x0
	v_add_f64_e32 v[4:5], v[4:5], v[6:7]
	ds_bpermute_b32 v6, v3, v4
	ds_bpermute_b32 v7, v3, v5
	v_cndmask_b32_e64 v3, 0, 8, s0
	s_delay_alu instid0(VALU_DEP_1)
	v_add_lshl_u32 v3, v3, v1, 2
	v_lshl_or_b32 v1, v1, 2, 64
	s_wait_dscnt 0x0
	v_add_f64_e32 v[4:5], v[4:5], v[6:7]
	ds_bpermute_b32 v6, v3, v4
	ds_bpermute_b32 v7, v3, v5
	s_wait_dscnt 0x0
	v_add_f64_e32 v[4:5], v[4:5], v[6:7]
	ds_bpermute_b32 v6, v1, v4
	ds_bpermute_b32 v7, v1, v5
	s_wait_dscnt 0x0
	v_dual_add_f64 v[4:5], v[4:5], v[6:7] :: v_dual_bitop2_b32 v1, 31, v0 bitop3:0x40
	s_delay_alu instid0(VALU_DEP_1)
	v_cmpx_eq_u32_e32 0, v1
; %bb.7:
	v_lshrrev_b32_e32 v1, 2, v0
	s_delay_alu instid0(VALU_DEP_1)
	v_add_nc_u32_e32 v1, 0, v1
	ds_store_b64 v1, v[4:5]
; %bb.8:
	s_or_b32 exec_lo, exec_lo, s1
	s_delay_alu instid0(SALU_CYCLE_1)
	s_mov_b32 s1, exec_lo
	s_wait_dscnt 0x0
	s_barrier_signal -1
	s_barrier_wait -1
	v_cmpx_eq_u32_e32 0, v0
	s_cbranch_execz .LBB29_10
; %bb.9:
	v_mov_b32_e32 v1, 0
	ds_load_2addr_b64 v[6:9], v1 offset0:1 offset1:2
	ds_load_2addr_b64 v[10:13], v1 offset0:3 offset1:4
	s_wait_dscnt 0x1
	v_add_f64_e32 v[4:5], v[4:5], v[6:7]
	s_delay_alu instid0(VALU_DEP_1) | instskip(SKIP_1) | instid1(VALU_DEP_1)
	v_add_f64_e32 v[4:5], v[4:5], v[8:9]
	s_wait_dscnt 0x0
	v_add_f64_e32 v[4:5], v[4:5], v[10:11]
	s_delay_alu instid0(VALU_DEP_1) | instskip(SKIP_4) | instid1(VALU_DEP_1)
	v_add_f64_e32 v[12:13], v[4:5], v[12:13]
	ds_load_2addr_b64 v[4:7], v1 offset0:5 offset1:6
	ds_load_2addr_b64 v[8:11], v1 offset0:7 offset1:8
	s_wait_dscnt 0x1
	v_add_f64_e32 v[4:5], v[12:13], v[4:5]
	v_add_f64_e32 v[4:5], v[4:5], v[6:7]
	s_wait_dscnt 0x0
	s_delay_alu instid0(VALU_DEP_1) | instskip(NEXT) | instid1(VALU_DEP_1)
	v_add_f64_e32 v[4:5], v[4:5], v[8:9]
	v_add_f64_e32 v[12:13], v[4:5], v[10:11]
	ds_load_2addr_b64 v[4:7], v1 offset0:9 offset1:10
	ds_load_2addr_b64 v[8:11], v1 offset0:11 offset1:12
	s_wait_dscnt 0x1
	v_add_f64_e32 v[4:5], v[12:13], v[4:5]
	s_delay_alu instid0(VALU_DEP_1) | instskip(SKIP_1) | instid1(VALU_DEP_1)
	v_add_f64_e32 v[4:5], v[4:5], v[6:7]
	s_wait_dscnt 0x0
	v_add_f64_e32 v[4:5], v[4:5], v[8:9]
	s_delay_alu instid0(VALU_DEP_1) | instskip(SKIP_4) | instid1(VALU_DEP_1)
	v_add_f64_e32 v[12:13], v[4:5], v[10:11]
	ds_load_2addr_b64 v[4:7], v1 offset0:13 offset1:14
	ds_load_2addr_b64 v[8:11], v1 offset0:15 offset1:16
	s_wait_dscnt 0x1
	v_add_f64_e32 v[4:5], v[12:13], v[4:5]
	v_add_f64_e32 v[4:5], v[4:5], v[6:7]
	s_wait_dscnt 0x0
	s_delay_alu instid0(VALU_DEP_1) | instskip(NEXT) | instid1(VALU_DEP_1)
	v_add_f64_e32 v[4:5], v[4:5], v[8:9]
	v_add_f64_e32 v[12:13], v[4:5], v[10:11]
	;; [unrolled: 19-line block ×3, first 2 shown]
	ds_load_2addr_b64 v[4:7], v1 offset0:25 offset1:26
	ds_load_2addr_b64 v[8:11], v1 offset0:27 offset1:28
	s_wait_dscnt 0x1
	v_add_f64_e32 v[4:5], v[12:13], v[4:5]
	s_delay_alu instid0(VALU_DEP_1) | instskip(SKIP_1) | instid1(VALU_DEP_1)
	v_add_f64_e32 v[4:5], v[4:5], v[6:7]
	s_wait_dscnt 0x0
	v_add_f64_e32 v[4:5], v[4:5], v[8:9]
	s_delay_alu instid0(VALU_DEP_1) | instskip(SKIP_4) | instid1(VALU_DEP_1)
	v_add_f64_e32 v[8:9], v[4:5], v[10:11]
	ds_load_2addr_b64 v[4:7], v1 offset0:29 offset1:30
	ds_load_b64 v[10:11], v1 offset:248
	s_wait_dscnt 0x1
	v_add_f64_e32 v[4:5], v[8:9], v[4:5]
	v_add_f64_e32 v[4:5], v[4:5], v[6:7]
	s_wait_dscnt 0x0
	s_delay_alu instid0(VALU_DEP_1)
	v_add_f64_e32 v[4:5], v[4:5], v[10:11]
	ds_store_b64 v1, v[4:5]
.LBB29_10:
	s_or_b32 exec_lo, exec_lo, s1
	s_wait_dscnt 0x0
	s_barrier_signal -1
	s_barrier_wait -1
	s_and_saveexec_b32 s0, vcc_lo
	s_cbranch_execz .LBB29_13
; %bb.11:
	s_mul_u64 s[0:1], s[6:7], s[12:13]
	v_mov_b32_e32 v3, 0
	s_lshl_b64 s[0:1], s[0:1], 3
	v_add3_u32 v1, v2, 0, 0x100
	s_add_nc_u64 s[0:1], s[4:5], s[0:1]
	s_lshl_b64 s[4:5], s[10:11], 3
	s_load_b64 s[0:1], s[0:1], 0x0
	ds_load_b64 v[4:5], v3
	s_wait_dscnt 0x0
	s_wait_kmcnt 0x0
	v_mul_f64_e64 v[4:5], v[4:5], -s[0:1]
	s_lshl_b64 s[0:1], s[8:9], 3
	s_delay_alu instid0(SALU_CYCLE_1) | instskip(NEXT) | instid1(SALU_CYCLE_1)
	s_add_nc_u64 s[0:1], s[0:1], s[4:5]
	s_add_nc_u64 s[0:1], s[2:3], s[0:1]
	s_delay_alu instid0(SALU_CYCLE_1)
	v_add_nc_u64_e32 v[6:7], s[0:1], v[2:3]
	s_mov_b32 s0, 0
.LBB29_12:                              ; =>This Inner Loop Header: Depth=1
	flat_load_b64 v[2:3], v[6:7]
	ds_load_b64 v[8:9], v1
	v_add_nc_u32_e32 v0, 0x400, v0
	v_add_nc_u32_e32 v1, 0x2000, v1
	s_delay_alu instid0(VALU_DEP_2)
	v_cmp_le_i32_e32 vcc_lo, s16, v0
	s_or_b32 s0, vcc_lo, s0
	s_wait_loadcnt_dscnt 0x0
	v_fmac_f64_e32 v[2:3], v[4:5], v[8:9]
	flat_store_b64 v[6:7], v[2:3]
	s_wait_xcnt 0x0
	v_add_nc_u64_e32 v[6:7], 0x2000, v[6:7]
	s_and_not1_b32 exec_lo, exec_lo, s0
	s_cbranch_execnz .LBB29_12
.LBB29_13:
	s_endpgm
	.section	.rodata,"a",@progbits
	.p2align	6, 0x0
	.amdhsa_kernel _ZN9rocsolver6v33100L16larf_left_kernelILi1024EdiPKPdEEvT1_S5_T2_lS5_lPKT0_lS6_lS5_l
		.amdhsa_group_segment_fixed_size 0
		.amdhsa_private_segment_fixed_size 0
		.amdhsa_kernarg_size 88
		.amdhsa_user_sgpr_count 2
		.amdhsa_user_sgpr_dispatch_ptr 0
		.amdhsa_user_sgpr_queue_ptr 0
		.amdhsa_user_sgpr_kernarg_segment_ptr 1
		.amdhsa_user_sgpr_dispatch_id 0
		.amdhsa_user_sgpr_kernarg_preload_length 0
		.amdhsa_user_sgpr_kernarg_preload_offset 0
		.amdhsa_user_sgpr_private_segment_size 0
		.amdhsa_wavefront_size32 1
		.amdhsa_uses_dynamic_stack 0
		.amdhsa_enable_private_segment 0
		.amdhsa_system_sgpr_workgroup_id_x 1
		.amdhsa_system_sgpr_workgroup_id_y 1
		.amdhsa_system_sgpr_workgroup_id_z 1
		.amdhsa_system_sgpr_workgroup_info 0
		.amdhsa_system_vgpr_workitem_id 0
		.amdhsa_next_free_vgpr 14
		.amdhsa_next_free_sgpr 24
		.amdhsa_named_barrier_count 0
		.amdhsa_reserve_vcc 1
		.amdhsa_float_round_mode_32 0
		.amdhsa_float_round_mode_16_64 0
		.amdhsa_float_denorm_mode_32 3
		.amdhsa_float_denorm_mode_16_64 3
		.amdhsa_fp16_overflow 0
		.amdhsa_memory_ordered 1
		.amdhsa_forward_progress 1
		.amdhsa_inst_pref_size 12
		.amdhsa_round_robin_scheduling 0
		.amdhsa_exception_fp_ieee_invalid_op 0
		.amdhsa_exception_fp_denorm_src 0
		.amdhsa_exception_fp_ieee_div_zero 0
		.amdhsa_exception_fp_ieee_overflow 0
		.amdhsa_exception_fp_ieee_underflow 0
		.amdhsa_exception_fp_ieee_inexact 0
		.amdhsa_exception_int_div_zero 0
	.end_amdhsa_kernel
	.section	.text._ZN9rocsolver6v33100L16larf_left_kernelILi1024EdiPKPdEEvT1_S5_T2_lS5_lPKT0_lS6_lS5_l,"axG",@progbits,_ZN9rocsolver6v33100L16larf_left_kernelILi1024EdiPKPdEEvT1_S5_T2_lS5_lPKT0_lS6_lS5_l,comdat
.Lfunc_end29:
	.size	_ZN9rocsolver6v33100L16larf_left_kernelILi1024EdiPKPdEEvT1_S5_T2_lS5_lPKT0_lS6_lS5_l, .Lfunc_end29-_ZN9rocsolver6v33100L16larf_left_kernelILi1024EdiPKPdEEvT1_S5_T2_lS5_lPKT0_lS6_lS5_l
                                        ; -- End function
	.set _ZN9rocsolver6v33100L16larf_left_kernelILi1024EdiPKPdEEvT1_S5_T2_lS5_lPKT0_lS6_lS5_l.num_vgpr, 14
	.set _ZN9rocsolver6v33100L16larf_left_kernelILi1024EdiPKPdEEvT1_S5_T2_lS5_lPKT0_lS6_lS5_l.num_agpr, 0
	.set _ZN9rocsolver6v33100L16larf_left_kernelILi1024EdiPKPdEEvT1_S5_T2_lS5_lPKT0_lS6_lS5_l.numbered_sgpr, 24
	.set _ZN9rocsolver6v33100L16larf_left_kernelILi1024EdiPKPdEEvT1_S5_T2_lS5_lPKT0_lS6_lS5_l.num_named_barrier, 0
	.set _ZN9rocsolver6v33100L16larf_left_kernelILi1024EdiPKPdEEvT1_S5_T2_lS5_lPKT0_lS6_lS5_l.private_seg_size, 0
	.set _ZN9rocsolver6v33100L16larf_left_kernelILi1024EdiPKPdEEvT1_S5_T2_lS5_lPKT0_lS6_lS5_l.uses_vcc, 1
	.set _ZN9rocsolver6v33100L16larf_left_kernelILi1024EdiPKPdEEvT1_S5_T2_lS5_lPKT0_lS6_lS5_l.uses_flat_scratch, 0
	.set _ZN9rocsolver6v33100L16larf_left_kernelILi1024EdiPKPdEEvT1_S5_T2_lS5_lPKT0_lS6_lS5_l.has_dyn_sized_stack, 0
	.set _ZN9rocsolver6v33100L16larf_left_kernelILi1024EdiPKPdEEvT1_S5_T2_lS5_lPKT0_lS6_lS5_l.has_recursion, 0
	.set _ZN9rocsolver6v33100L16larf_left_kernelILi1024EdiPKPdEEvT1_S5_T2_lS5_lPKT0_lS6_lS5_l.has_indirect_call, 0
	.section	.AMDGPU.csdata,"",@progbits
; Kernel info:
; codeLenInByte = 1420
; TotalNumSgprs: 26
; NumVgprs: 14
; ScratchSize: 0
; MemoryBound: 0
; FloatMode: 240
; IeeeMode: 1
; LDSByteSize: 0 bytes/workgroup (compile time only)
; SGPRBlocks: 0
; VGPRBlocks: 0
; NumSGPRsForWavesPerEU: 26
; NumVGPRsForWavesPerEU: 14
; NamedBarCnt: 0
; Occupancy: 16
; WaveLimiterHint : 0
; COMPUTE_PGM_RSRC2:SCRATCH_EN: 0
; COMPUTE_PGM_RSRC2:USER_SGPR: 2
; COMPUTE_PGM_RSRC2:TRAP_HANDLER: 0
; COMPUTE_PGM_RSRC2:TGID_X_EN: 1
; COMPUTE_PGM_RSRC2:TGID_Y_EN: 1
; COMPUTE_PGM_RSRC2:TGID_Z_EN: 1
; COMPUTE_PGM_RSRC2:TIDIG_COMP_CNT: 0
	.section	.text._ZN9rocsolver6v33100L17larf_right_kernelILi1024EdiPKPdEEvT1_S5_T2_lS5_lPKT0_lS6_lS5_l,"axG",@progbits,_ZN9rocsolver6v33100L17larf_right_kernelILi1024EdiPKPdEEvT1_S5_T2_lS5_lPKT0_lS6_lS5_l,comdat
	.globl	_ZN9rocsolver6v33100L17larf_right_kernelILi1024EdiPKPdEEvT1_S5_T2_lS5_lPKT0_lS6_lS5_l ; -- Begin function _ZN9rocsolver6v33100L17larf_right_kernelILi1024EdiPKPdEEvT1_S5_T2_lS5_lPKT0_lS6_lS5_l
	.p2align	8
	.type	_ZN9rocsolver6v33100L17larf_right_kernelILi1024EdiPKPdEEvT1_S5_T2_lS5_lPKT0_lS6_lS5_l,@function
_ZN9rocsolver6v33100L17larf_right_kernelILi1024EdiPKPdEEvT1_S5_T2_lS5_lPKT0_lS6_lS5_l: ; @_ZN9rocsolver6v33100L17larf_right_kernelILi1024EdiPKPdEEvT1_S5_T2_lS5_lPKT0_lS6_lS5_l
; %bb.0:
	s_load_b256 s[4:11], s[0:1], 0x28
	s_bfe_u32 s2, ttmp6, 0x40010
	s_and_b32 s3, ttmp7, 0xffff
	s_add_co_i32 s2, s2, 1
	s_bfe_u32 s13, ttmp6, 0x40014
	s_mul_i32 s2, s3, s2
	s_bfe_u32 s12, ttmp6, 0x40004
	s_lshr_b32 s14, ttmp7, 16
	s_add_co_i32 s13, s13, 1
	s_add_co_i32 s17, s12, s2
	s_mul_i32 s2, s14, s13
	s_bfe_u32 s12, ttmp6, 0x40008
	s_load_b32 s16, s[0:1], 0x4
	s_getreg_b32 s13, hwreg(HW_REG_IB_STS2, 6, 4)
	s_add_co_i32 s12, s12, s2
	s_cmp_eq_u32 s13, 0
	v_mov_b64_e32 v[2:3], 0
	s_cselect_b32 s14, s14, s12
	v_lshlrev_b32_e32 v6, 3, v0
	s_load_b32 s2, s[0:1], 0x48
	s_wait_kmcnt 0x0
	s_load_b64 s[12:13], s[8:9], s14 offset:0x0 scale_offset
	s_mov_b32 s15, 0
	s_cselect_b32 s17, s3, s17
	v_cmp_gt_i32_e32 vcc_lo, s16, v0
	s_and_saveexec_b32 s18, vcc_lo
	s_cbranch_execz .LBB30_6
; %bb.1:
	s_wait_xcnt 0x0
	s_clause 0x1
	s_load_b32 s8, s[0:1], 0x18
	s_load_b128 s[20:23], s[0:1], 0x8
	v_add3_u32 v7, v6, 0, 0x100
	v_mov_b32_e32 v1, 0
	s_sub_co_i32 s19, 1, s16
	s_delay_alu instid0(VALU_DEP_2)
	v_dual_mov_b32 v5, v0 :: v_dual_mov_b32 v4, v7
	s_wait_kmcnt 0x0
	s_ashr_i32 s9, s8, 31
	s_load_b64 s[0:1], s[20:21], s14 offset:0x0 scale_offset
	v_mul_u64_e32 v[2:3], s[8:9], v[0:1]
	v_cmp_lt_i64_e64 s3, s[8:9], 1
	s_mul_i32 s19, s8, s19
	s_and_b32 s3, s3, exec_lo
	s_wait_xcnt 0x0
	s_cselect_b32 s20, s19, 0
	s_lshl_b64 s[22:23], s[22:23], 3
	s_ashr_i32 s21, s20, 31
	s_lshl_b64 s[8:9], s[8:9], 13
	s_lshl_b64 s[20:21], s[20:21], 3
	s_wait_kmcnt 0x0
	s_add_nc_u64 s[0:1], s[0:1], s[20:21]
	s_delay_alu instid0(SALU_CYCLE_1) | instskip(NEXT) | instid1(SALU_CYCLE_1)
	s_add_nc_u64 s[0:1], s[0:1], s[22:23]
	v_lshl_add_u64 v[2:3], v[2:3], 3, s[0:1]
	s_mov_b32 s1, s15
.LBB30_2:                               ; =>This Inner Loop Header: Depth=1
	flat_load_b64 v[8:9], v[2:3]
	v_add_nc_u32_e32 v5, 0x400, v5
	s_wait_xcnt 0x0
	v_add_nc_u64_e32 v[2:3], s[8:9], v[2:3]
	s_delay_alu instid0(VALU_DEP_2)
	v_cmp_le_i32_e64 s0, s16, v5
	s_or_b32 s1, s0, s1
	s_wait_loadcnt_dscnt 0x0
	ds_store_b64 v4, v[8:9]
	v_add_nc_u32_e32 v4, 0x2000, v4
	s_and_not1_b32 exec_lo, exec_lo, s1
	s_cbranch_execnz .LBB30_2
; %bb.3:
	s_or_b32 exec_lo, exec_lo, s1
	s_ashr_i32 s3, s2, 31
	s_lshl_b32 s0, s17, 3
	v_mul_u64_e32 v[4:5], s[2:3], v[0:1]
	s_mov_b32 s1, 0
	s_lshl_b64 s[8:9], s[10:11], 3
	s_add_nc_u64 s[20:21], s[12:13], s[0:1]
	v_mov_b64_e32 v[2:3], 0
	s_add_nc_u64 s[8:9], s[20:21], s[8:9]
	v_mov_b32_e32 v1, v0
	s_delay_alu instid0(VALU_DEP_3)
	v_lshl_add_u64 v[4:5], v[4:5], 3, s[8:9]
	s_lshl_b64 s[8:9], s[2:3], 13
.LBB30_4:                               ; =>This Inner Loop Header: Depth=1
	flat_load_b64 v[8:9], v[4:5]
	ds_load_b64 v[10:11], v7
	v_add_nc_u32_e32 v1, 0x400, v1
	s_wait_xcnt 0x0
	v_add_nc_u64_e32 v[4:5], s[8:9], v[4:5]
	v_add_nc_u32_e32 v7, 0x2000, v7
	s_delay_alu instid0(VALU_DEP_3)
	v_cmp_le_i32_e64 s0, s16, v1
	s_or_b32 s1, s0, s1
	s_wait_loadcnt_dscnt 0x0
	v_fmac_f64_e32 v[2:3], v[8:9], v[10:11]
	s_and_not1_b32 exec_lo, exec_lo, s1
	s_cbranch_execnz .LBB30_4
; %bb.5:
	s_or_b32 exec_lo, exec_lo, s1
.LBB30_6:
	s_delay_alu instid0(SALU_CYCLE_1) | instskip(SKIP_2) | instid1(VALU_DEP_1)
	s_or_b32 exec_lo, exec_lo, s18
	v_mbcnt_lo_u32_b32 v1, -1, 0
	s_mov_b32 s1, exec_lo
	v_cmp_ne_u32_e64 s0, 31, v1
	s_delay_alu instid0(VALU_DEP_1) | instskip(SKIP_1) | instid1(VALU_DEP_2)
	v_add_co_ci_u32_e64 v4, null, 0, v1, s0
	v_cmp_gt_u32_e64 s0, 30, v1
	v_lshlrev_b32_e32 v5, 2, v4
	ds_bpermute_b32 v4, v5, v2
	ds_bpermute_b32 v5, v5, v3
	s_wait_dscnt 0x0
	v_add_f64_e32 v[2:3], v[2:3], v[4:5]
	v_cndmask_b32_e64 v4, 0, 2, s0
	v_cmp_gt_u32_e64 s0, 28, v1
	s_delay_alu instid0(VALU_DEP_2)
	v_add_lshl_u32 v5, v4, v1, 2
	ds_bpermute_b32 v4, v5, v2
	ds_bpermute_b32 v5, v5, v3
	s_wait_dscnt 0x0
	v_add_f64_e32 v[2:3], v[2:3], v[4:5]
	v_cndmask_b32_e64 v4, 0, 4, s0
	v_cmp_gt_u32_e64 s0, 24, v1
	s_delay_alu instid0(VALU_DEP_2)
	v_add_lshl_u32 v5, v4, v1, 2
	ds_bpermute_b32 v4, v5, v2
	ds_bpermute_b32 v5, v5, v3
	s_wait_dscnt 0x0
	v_add_f64_e32 v[2:3], v[2:3], v[4:5]
	v_cndmask_b32_e64 v4, 0, 8, s0
	s_delay_alu instid0(VALU_DEP_1)
	v_add_lshl_u32 v5, v4, v1, 2
	v_lshl_or_b32 v1, v1, 2, 64
	ds_bpermute_b32 v4, v5, v2
	ds_bpermute_b32 v5, v5, v3
	s_wait_dscnt 0x0
	v_add_f64_e32 v[2:3], v[2:3], v[4:5]
	ds_bpermute_b32 v4, v1, v2
	ds_bpermute_b32 v5, v1, v3
	v_and_b32_e32 v1, 31, v0
	s_wait_dscnt 0x0
	v_add_f64_e32 v[2:3], v[2:3], v[4:5]
	s_delay_alu instid0(VALU_DEP_2)
	v_cmpx_eq_u32_e32 0, v1
; %bb.7:
	v_lshrrev_b32_e32 v1, 2, v0
	s_delay_alu instid0(VALU_DEP_1)
	v_add_nc_u32_e32 v1, 0, v1
	ds_store_b64 v1, v[2:3]
; %bb.8:
	s_or_b32 exec_lo, exec_lo, s1
	s_delay_alu instid0(SALU_CYCLE_1)
	s_mov_b32 s1, exec_lo
	s_wait_dscnt 0x0
	s_barrier_signal -1
	s_barrier_wait -1
	v_cmpx_eq_u32_e32 0, v0
	s_cbranch_execz .LBB30_10
; %bb.9:
	v_mov_b32_e32 v1, 0
	ds_load_2addr_b64 v[8:11], v1 offset0:1 offset1:2
	ds_load_2addr_b64 v[12:15], v1 offset0:3 offset1:4
	s_wait_dscnt 0x1
	v_add_f64_e32 v[2:3], v[2:3], v[8:9]
	s_delay_alu instid0(VALU_DEP_1) | instskip(SKIP_1) | instid1(VALU_DEP_1)
	v_add_f64_e32 v[2:3], v[2:3], v[10:11]
	s_wait_dscnt 0x0
	v_add_f64_e32 v[2:3], v[2:3], v[12:13]
	s_delay_alu instid0(VALU_DEP_1) | instskip(SKIP_4) | instid1(VALU_DEP_1)
	v_add_f64_e32 v[12:13], v[2:3], v[14:15]
	ds_load_2addr_b64 v[2:5], v1 offset0:5 offset1:6
	ds_load_2addr_b64 v[8:11], v1 offset0:7 offset1:8
	s_wait_dscnt 0x1
	v_add_f64_e32 v[2:3], v[12:13], v[2:3]
	v_add_f64_e32 v[2:3], v[2:3], v[4:5]
	s_wait_dscnt 0x0
	s_delay_alu instid0(VALU_DEP_1) | instskip(NEXT) | instid1(VALU_DEP_1)
	v_add_f64_e32 v[2:3], v[2:3], v[8:9]
	v_add_f64_e32 v[12:13], v[2:3], v[10:11]
	ds_load_2addr_b64 v[2:5], v1 offset0:9 offset1:10
	ds_load_2addr_b64 v[8:11], v1 offset0:11 offset1:12
	s_wait_dscnt 0x1
	v_add_f64_e32 v[2:3], v[12:13], v[2:3]
	s_delay_alu instid0(VALU_DEP_1) | instskip(SKIP_1) | instid1(VALU_DEP_1)
	v_add_f64_e32 v[2:3], v[2:3], v[4:5]
	s_wait_dscnt 0x0
	v_add_f64_e32 v[2:3], v[2:3], v[8:9]
	s_delay_alu instid0(VALU_DEP_1) | instskip(SKIP_4) | instid1(VALU_DEP_1)
	v_add_f64_e32 v[12:13], v[2:3], v[10:11]
	ds_load_2addr_b64 v[2:5], v1 offset0:13 offset1:14
	ds_load_2addr_b64 v[8:11], v1 offset0:15 offset1:16
	s_wait_dscnt 0x1
	v_add_f64_e32 v[2:3], v[12:13], v[2:3]
	v_add_f64_e32 v[2:3], v[2:3], v[4:5]
	s_wait_dscnt 0x0
	s_delay_alu instid0(VALU_DEP_1) | instskip(NEXT) | instid1(VALU_DEP_1)
	v_add_f64_e32 v[2:3], v[2:3], v[8:9]
	v_add_f64_e32 v[12:13], v[2:3], v[10:11]
	;; [unrolled: 19-line block ×3, first 2 shown]
	ds_load_2addr_b64 v[2:5], v1 offset0:25 offset1:26
	ds_load_2addr_b64 v[8:11], v1 offset0:27 offset1:28
	s_wait_dscnt 0x1
	v_add_f64_e32 v[2:3], v[12:13], v[2:3]
	s_delay_alu instid0(VALU_DEP_1) | instskip(SKIP_1) | instid1(VALU_DEP_1)
	v_add_f64_e32 v[2:3], v[2:3], v[4:5]
	s_wait_dscnt 0x0
	v_add_f64_e32 v[2:3], v[2:3], v[8:9]
	s_delay_alu instid0(VALU_DEP_1) | instskip(SKIP_4) | instid1(VALU_DEP_1)
	v_add_f64_e32 v[8:9], v[2:3], v[10:11]
	ds_load_2addr_b64 v[2:5], v1 offset0:29 offset1:30
	ds_load_b64 v[10:11], v1 offset:248
	s_wait_dscnt 0x1
	v_add_f64_e32 v[2:3], v[8:9], v[2:3]
	v_add_f64_e32 v[2:3], v[2:3], v[4:5]
	s_wait_dscnt 0x0
	s_delay_alu instid0(VALU_DEP_1)
	v_add_f64_e32 v[2:3], v[2:3], v[10:11]
	ds_store_b64 v1, v[2:3]
.LBB30_10:
	s_or_b32 exec_lo, exec_lo, s1
	s_wait_dscnt 0x0
	s_barrier_signal -1
	s_barrier_wait -1
	s_and_saveexec_b32 s0, vcc_lo
	s_cbranch_execz .LBB30_13
; %bb.11:
	s_mul_u64 s[0:1], s[6:7], s[14:15]
	v_mov_b32_e32 v1, 0
	s_lshl_b64 s[0:1], s[0:1], 3
	s_ashr_i32 s3, s2, 31
	s_add_nc_u64 s[0:1], s[4:5], s[0:1]
	s_lshl_b64 s[4:5], s[10:11], 3
	s_load_b64 s[0:1], s[0:1], 0x0
	ds_load_b64 v[2:3], v1
	v_mul_u64_e32 v[4:5], s[2:3], v[0:1]
	v_add3_u32 v1, v6, 0, 0x100
	s_lshl_b64 s[2:3], s[2:3], 13
	s_wait_dscnt 0x0
	s_wait_kmcnt 0x0
	v_mul_f64_e64 v[2:3], v[2:3], -s[0:1]
	s_mov_b32 s1, 0
	s_lshl_b32 s0, s17, 3
	s_delay_alu instid0(SALU_CYCLE_1) | instskip(NEXT) | instid1(SALU_CYCLE_1)
	s_add_nc_u64 s[6:7], s[12:13], s[0:1]
	s_add_nc_u64 s[4:5], s[6:7], s[4:5]
	s_delay_alu instid0(VALU_DEP_3) | instid1(SALU_CYCLE_1)
	v_lshl_add_u64 v[4:5], v[4:5], 3, s[4:5]
.LBB30_12:                              ; =>This Inner Loop Header: Depth=1
	flat_load_b64 v[6:7], v[4:5]
	ds_load_b64 v[8:9], v1
	v_add_nc_u32_e32 v0, 0x400, v0
	v_add_nc_u32_e32 v1, 0x2000, v1
	s_delay_alu instid0(VALU_DEP_2)
	v_cmp_le_i32_e32 vcc_lo, s16, v0
	s_or_b32 s1, vcc_lo, s1
	s_wait_loadcnt_dscnt 0x0
	v_fmac_f64_e32 v[6:7], v[2:3], v[8:9]
	flat_store_b64 v[4:5], v[6:7]
	s_wait_xcnt 0x0
	v_add_nc_u64_e32 v[4:5], s[2:3], v[4:5]
	s_and_not1_b32 exec_lo, exec_lo, s1
	s_cbranch_execnz .LBB30_12
.LBB30_13:
	s_endpgm
	.section	.rodata,"a",@progbits
	.p2align	6, 0x0
	.amdhsa_kernel _ZN9rocsolver6v33100L17larf_right_kernelILi1024EdiPKPdEEvT1_S5_T2_lS5_lPKT0_lS6_lS5_l
		.amdhsa_group_segment_fixed_size 0
		.amdhsa_private_segment_fixed_size 0
		.amdhsa_kernarg_size 88
		.amdhsa_user_sgpr_count 2
		.amdhsa_user_sgpr_dispatch_ptr 0
		.amdhsa_user_sgpr_queue_ptr 0
		.amdhsa_user_sgpr_kernarg_segment_ptr 1
		.amdhsa_user_sgpr_dispatch_id 0
		.amdhsa_user_sgpr_kernarg_preload_length 0
		.amdhsa_user_sgpr_kernarg_preload_offset 0
		.amdhsa_user_sgpr_private_segment_size 0
		.amdhsa_wavefront_size32 1
		.amdhsa_uses_dynamic_stack 0
		.amdhsa_enable_private_segment 0
		.amdhsa_system_sgpr_workgroup_id_x 1
		.amdhsa_system_sgpr_workgroup_id_y 1
		.amdhsa_system_sgpr_workgroup_id_z 1
		.amdhsa_system_sgpr_workgroup_info 0
		.amdhsa_system_vgpr_workitem_id 0
		.amdhsa_next_free_vgpr 16
		.amdhsa_next_free_sgpr 24
		.amdhsa_named_barrier_count 0
		.amdhsa_reserve_vcc 1
		.amdhsa_float_round_mode_32 0
		.amdhsa_float_round_mode_16_64 0
		.amdhsa_float_denorm_mode_32 3
		.amdhsa_float_denorm_mode_16_64 3
		.amdhsa_fp16_overflow 0
		.amdhsa_memory_ordered 1
		.amdhsa_forward_progress 1
		.amdhsa_inst_pref_size 12
		.amdhsa_round_robin_scheduling 0
		.amdhsa_exception_fp_ieee_invalid_op 0
		.amdhsa_exception_fp_denorm_src 0
		.amdhsa_exception_fp_ieee_div_zero 0
		.amdhsa_exception_fp_ieee_overflow 0
		.amdhsa_exception_fp_ieee_underflow 0
		.amdhsa_exception_fp_ieee_inexact 0
		.amdhsa_exception_int_div_zero 0
	.end_amdhsa_kernel
	.section	.text._ZN9rocsolver6v33100L17larf_right_kernelILi1024EdiPKPdEEvT1_S5_T2_lS5_lPKT0_lS6_lS5_l,"axG",@progbits,_ZN9rocsolver6v33100L17larf_right_kernelILi1024EdiPKPdEEvT1_S5_T2_lS5_lPKT0_lS6_lS5_l,comdat
.Lfunc_end30:
	.size	_ZN9rocsolver6v33100L17larf_right_kernelILi1024EdiPKPdEEvT1_S5_T2_lS5_lPKT0_lS6_lS5_l, .Lfunc_end30-_ZN9rocsolver6v33100L17larf_right_kernelILi1024EdiPKPdEEvT1_S5_T2_lS5_lPKT0_lS6_lS5_l
                                        ; -- End function
	.set _ZN9rocsolver6v33100L17larf_right_kernelILi1024EdiPKPdEEvT1_S5_T2_lS5_lPKT0_lS6_lS5_l.num_vgpr, 16
	.set _ZN9rocsolver6v33100L17larf_right_kernelILi1024EdiPKPdEEvT1_S5_T2_lS5_lPKT0_lS6_lS5_l.num_agpr, 0
	.set _ZN9rocsolver6v33100L17larf_right_kernelILi1024EdiPKPdEEvT1_S5_T2_lS5_lPKT0_lS6_lS5_l.numbered_sgpr, 24
	.set _ZN9rocsolver6v33100L17larf_right_kernelILi1024EdiPKPdEEvT1_S5_T2_lS5_lPKT0_lS6_lS5_l.num_named_barrier, 0
	.set _ZN9rocsolver6v33100L17larf_right_kernelILi1024EdiPKPdEEvT1_S5_T2_lS5_lPKT0_lS6_lS5_l.private_seg_size, 0
	.set _ZN9rocsolver6v33100L17larf_right_kernelILi1024EdiPKPdEEvT1_S5_T2_lS5_lPKT0_lS6_lS5_l.uses_vcc, 1
	.set _ZN9rocsolver6v33100L17larf_right_kernelILi1024EdiPKPdEEvT1_S5_T2_lS5_lPKT0_lS6_lS5_l.uses_flat_scratch, 0
	.set _ZN9rocsolver6v33100L17larf_right_kernelILi1024EdiPKPdEEvT1_S5_T2_lS5_lPKT0_lS6_lS5_l.has_dyn_sized_stack, 0
	.set _ZN9rocsolver6v33100L17larf_right_kernelILi1024EdiPKPdEEvT1_S5_T2_lS5_lPKT0_lS6_lS5_l.has_recursion, 0
	.set _ZN9rocsolver6v33100L17larf_right_kernelILi1024EdiPKPdEEvT1_S5_T2_lS5_lPKT0_lS6_lS5_l.has_indirect_call, 0
	.section	.AMDGPU.csdata,"",@progbits
; Kernel info:
; codeLenInByte = 1412
; TotalNumSgprs: 26
; NumVgprs: 16
; ScratchSize: 0
; MemoryBound: 0
; FloatMode: 240
; IeeeMode: 1
; LDSByteSize: 0 bytes/workgroup (compile time only)
; SGPRBlocks: 0
; VGPRBlocks: 0
; NumSGPRsForWavesPerEU: 26
; NumVGPRsForWavesPerEU: 16
; NamedBarCnt: 0
; Occupancy: 16
; WaveLimiterHint : 0
; COMPUTE_PGM_RSRC2:SCRATCH_EN: 0
; COMPUTE_PGM_RSRC2:USER_SGPR: 2
; COMPUTE_PGM_RSRC2:TRAP_HANDLER: 0
; COMPUTE_PGM_RSRC2:TGID_X_EN: 1
; COMPUTE_PGM_RSRC2:TGID_Y_EN: 1
; COMPUTE_PGM_RSRC2:TGID_Z_EN: 1
; COMPUTE_PGM_RSRC2:TIDIG_COMP_CNT: 0
	.section	.text._ZN9rocsolver6v33100L9get_arrayIdiEEvPPT_S3_lT0_,"axG",@progbits,_ZN9rocsolver6v33100L9get_arrayIdiEEvPPT_S3_lT0_,comdat
	.globl	_ZN9rocsolver6v33100L9get_arrayIdiEEvPPT_S3_lT0_ ; -- Begin function _ZN9rocsolver6v33100L9get_arrayIdiEEvPPT_S3_lT0_
	.p2align	8
	.type	_ZN9rocsolver6v33100L9get_arrayIdiEEvPPT_S3_lT0_,@function
_ZN9rocsolver6v33100L9get_arrayIdiEEvPPT_S3_lT0_: ; @_ZN9rocsolver6v33100L9get_arrayIdiEEvPPT_S3_lT0_
; %bb.0:
	s_clause 0x1
	s_load_b32 s2, s[0:1], 0x2c
	s_load_b32 s3, s[0:1], 0x18
	s_bfe_u32 s4, ttmp6, 0x4000c
	s_and_b32 s5, ttmp6, 15
	s_add_co_i32 s4, s4, 1
	s_getreg_b32 s6, hwreg(HW_REG_IB_STS2, 6, 4)
	s_mul_i32 s4, ttmp9, s4
	s_delay_alu instid0(SALU_CYCLE_1) | instskip(SKIP_4) | instid1(SALU_CYCLE_1)
	s_add_co_i32 s5, s5, s4
	s_wait_kmcnt 0x0
	s_and_b32 s2, s2, 0xffff
	s_cmp_eq_u32 s6, 0
	s_cselect_b32 s4, ttmp9, s5
	v_mad_u32 v0, s4, s2, v0
	s_mov_b32 s2, exec_lo
	s_delay_alu instid0(VALU_DEP_1)
	v_cmpx_gt_i32_e64 s3, v0
	s_cbranch_execz .LBB31_2
; %bb.1:
	s_load_b64 s[2:3], s[0:1], 0x10
	v_ashrrev_i32_e32 v1, 31, v0
	s_wait_kmcnt 0x0
	s_delay_alu instid0(VALU_DEP_1) | instskip(SKIP_2) | instid1(VALU_DEP_1)
	v_mul_u64_e32 v[2:3], s[2:3], v[0:1]
	s_load_b128 s[0:3], s[0:1], 0x0
	s_wait_kmcnt 0x0
	v_lshl_add_u64 v[2:3], v[2:3], 3, s[2:3]
	global_store_b64 v0, v[2:3], s[0:1] scale_offset
.LBB31_2:
	s_endpgm
	.section	.rodata,"a",@progbits
	.p2align	6, 0x0
	.amdhsa_kernel _ZN9rocsolver6v33100L9get_arrayIdiEEvPPT_S3_lT0_
		.amdhsa_group_segment_fixed_size 0
		.amdhsa_private_segment_fixed_size 0
		.amdhsa_kernarg_size 288
		.amdhsa_user_sgpr_count 2
		.amdhsa_user_sgpr_dispatch_ptr 0
		.amdhsa_user_sgpr_queue_ptr 0
		.amdhsa_user_sgpr_kernarg_segment_ptr 1
		.amdhsa_user_sgpr_dispatch_id 0
		.amdhsa_user_sgpr_kernarg_preload_length 0
		.amdhsa_user_sgpr_kernarg_preload_offset 0
		.amdhsa_user_sgpr_private_segment_size 0
		.amdhsa_wavefront_size32 1
		.amdhsa_uses_dynamic_stack 0
		.amdhsa_enable_private_segment 0
		.amdhsa_system_sgpr_workgroup_id_x 1
		.amdhsa_system_sgpr_workgroup_id_y 0
		.amdhsa_system_sgpr_workgroup_id_z 0
		.amdhsa_system_sgpr_workgroup_info 0
		.amdhsa_system_vgpr_workitem_id 0
		.amdhsa_next_free_vgpr 4
		.amdhsa_next_free_sgpr 7
		.amdhsa_named_barrier_count 0
		.amdhsa_reserve_vcc 0
		.amdhsa_float_round_mode_32 0
		.amdhsa_float_round_mode_16_64 0
		.amdhsa_float_denorm_mode_32 3
		.amdhsa_float_denorm_mode_16_64 3
		.amdhsa_fp16_overflow 0
		.amdhsa_memory_ordered 1
		.amdhsa_forward_progress 1
		.amdhsa_inst_pref_size 2
		.amdhsa_round_robin_scheduling 0
		.amdhsa_exception_fp_ieee_invalid_op 0
		.amdhsa_exception_fp_denorm_src 0
		.amdhsa_exception_fp_ieee_div_zero 0
		.amdhsa_exception_fp_ieee_overflow 0
		.amdhsa_exception_fp_ieee_underflow 0
		.amdhsa_exception_fp_ieee_inexact 0
		.amdhsa_exception_int_div_zero 0
	.end_amdhsa_kernel
	.section	.text._ZN9rocsolver6v33100L9get_arrayIdiEEvPPT_S3_lT0_,"axG",@progbits,_ZN9rocsolver6v33100L9get_arrayIdiEEvPPT_S3_lT0_,comdat
.Lfunc_end31:
	.size	_ZN9rocsolver6v33100L9get_arrayIdiEEvPPT_S3_lT0_, .Lfunc_end31-_ZN9rocsolver6v33100L9get_arrayIdiEEvPPT_S3_lT0_
                                        ; -- End function
	.set _ZN9rocsolver6v33100L9get_arrayIdiEEvPPT_S3_lT0_.num_vgpr, 4
	.set _ZN9rocsolver6v33100L9get_arrayIdiEEvPPT_S3_lT0_.num_agpr, 0
	.set _ZN9rocsolver6v33100L9get_arrayIdiEEvPPT_S3_lT0_.numbered_sgpr, 7
	.set _ZN9rocsolver6v33100L9get_arrayIdiEEvPPT_S3_lT0_.num_named_barrier, 0
	.set _ZN9rocsolver6v33100L9get_arrayIdiEEvPPT_S3_lT0_.private_seg_size, 0
	.set _ZN9rocsolver6v33100L9get_arrayIdiEEvPPT_S3_lT0_.uses_vcc, 0
	.set _ZN9rocsolver6v33100L9get_arrayIdiEEvPPT_S3_lT0_.uses_flat_scratch, 0
	.set _ZN9rocsolver6v33100L9get_arrayIdiEEvPPT_S3_lT0_.has_dyn_sized_stack, 0
	.set _ZN9rocsolver6v33100L9get_arrayIdiEEvPPT_S3_lT0_.has_recursion, 0
	.set _ZN9rocsolver6v33100L9get_arrayIdiEEvPPT_S3_lT0_.has_indirect_call, 0
	.section	.AMDGPU.csdata,"",@progbits
; Kernel info:
; codeLenInByte = 160
; TotalNumSgprs: 7
; NumVgprs: 4
; ScratchSize: 0
; MemoryBound: 0
; FloatMode: 240
; IeeeMode: 1
; LDSByteSize: 0 bytes/workgroup (compile time only)
; SGPRBlocks: 0
; VGPRBlocks: 0
; NumSGPRsForWavesPerEU: 7
; NumVGPRsForWavesPerEU: 4
; NamedBarCnt: 0
; Occupancy: 16
; WaveLimiterHint : 0
; COMPUTE_PGM_RSRC2:SCRATCH_EN: 0
; COMPUTE_PGM_RSRC2:USER_SGPR: 2
; COMPUTE_PGM_RSRC2:TRAP_HANDLER: 0
; COMPUTE_PGM_RSRC2:TGID_X_EN: 1
; COMPUTE_PGM_RSRC2:TGID_Y_EN: 0
; COMPUTE_PGM_RSRC2:TGID_Z_EN: 0
; COMPUTE_PGM_RSRC2:TIDIG_COMP_CNT: 0
	.section	.text._ZN9rocsolver6v33100L12restore_diagIdidPKPdEEvPT1_llT2_lT0_lS8_,"axG",@progbits,_ZN9rocsolver6v33100L12restore_diagIdidPKPdEEvPT1_llT2_lT0_lS8_,comdat
	.globl	_ZN9rocsolver6v33100L12restore_diagIdidPKPdEEvPT1_llT2_lT0_lS8_ ; -- Begin function _ZN9rocsolver6v33100L12restore_diagIdidPKPdEEvPT1_llT2_lT0_lS8_
	.p2align	8
	.type	_ZN9rocsolver6v33100L12restore_diagIdidPKPdEEvPT1_llT2_lT0_lS8_,@function
_ZN9rocsolver6v33100L12restore_diagIdidPKPdEEvPT1_llT2_lT0_lS8_: ; @_ZN9rocsolver6v33100L12restore_diagIdidPKPdEEvPT1_llT2_lT0_lS8_
; %bb.0:
	s_clause 0x1
	s_load_u16 s3, s[0:1], 0x4e
	s_load_b32 s4, s[0:1], 0x38
	s_bfe_u32 s2, ttmp6, 0x40010
	s_bfe_u32 s5, ttmp6, 0x40004
	s_add_co_i32 s2, s2, 1
	v_bfe_u32 v0, v0, 10, 10
	s_mul_i32 s2, ttmp7, s2
	s_delay_alu instid0(SALU_CYCLE_1) | instskip(SKIP_1) | instid1(SALU_CYCLE_1)
	s_add_co_i32 s5, s5, s2
	s_getreg_b32 s2, hwreg(HW_REG_IB_STS2, 6, 4)
	s_cmp_eq_u32 s2, 0
	s_cselect_b32 s5, ttmp7, s5
	s_wait_kmcnt 0x0
	v_mad_u32 v0, s5, s3, v0
	s_mov_b32 s3, exec_lo
	s_delay_alu instid0(VALU_DEP_1)
	v_cmpx_gt_i32_e64 s4, v0
	s_cbranch_execz .LBB32_2
; %bb.1:
	s_load_b256 s[4:11], s[0:1], 0x0
	s_bfe_u32 s3, ttmp6, 0x4000c
	s_and_b32 s12, ttmp6, 15
	s_add_co_i32 s3, s3, 1
	s_delay_alu instid0(SALU_CYCLE_1) | instskip(NEXT) | instid1(SALU_CYCLE_1)
	s_mul_i32 s3, ttmp9, s3
	s_add_co_i32 s12, s12, s3
	s_cmp_eq_u32 s2, 0
	s_cselect_b32 s12, ttmp9, s12
	s_delay_alu instid0(SALU_CYCLE_1) | instskip(SKIP_2) | instid1(SALU_CYCLE_1)
	s_ashr_i32 s13, s12, 31
	s_wait_kmcnt 0x0
	s_mul_u64 s[2:3], s[8:9], s[12:13]
	s_lshl_b64 s[2:3], s[2:3], 3
	s_delay_alu instid0(SALU_CYCLE_1) | instskip(SKIP_1) | instid1(SALU_CYCLE_1)
	s_add_nc_u64 s[2:3], s[4:5], s[2:3]
	s_lshl_b64 s[4:5], s[6:7], 3
	s_add_nc_u64 s[2:3], s[2:3], s[4:5]
	s_lshl_b64 s[4:5], s[12:13], 3
	global_load_b64 v[2:3], v0, s[2:3] scale_offset
	s_wait_xcnt 0x0
	s_load_b96 s[0:2], s[0:1], 0x20
	s_add_nc_u64 s[4:5], s[10:11], s[4:5]
	s_load_b64 s[4:5], s[4:5], 0x0
	s_wait_kmcnt 0x0
	v_mad_u32 v0, v0, s2, v0
	s_lshl_b64 s[0:1], s[0:1], 3
	s_delay_alu instid0(SALU_CYCLE_1)
	s_add_nc_u64 s[0:1], s[4:5], s[0:1]
	s_wait_loadcnt 0x0
	flat_store_b64 v0, v[2:3], s[0:1] scale_offset
.LBB32_2:
	s_endpgm
	.section	.rodata,"a",@progbits
	.p2align	6, 0x0
	.amdhsa_kernel _ZN9rocsolver6v33100L12restore_diagIdidPKPdEEvPT1_llT2_lT0_lS8_
		.amdhsa_group_segment_fixed_size 0
		.amdhsa_private_segment_fixed_size 0
		.amdhsa_kernarg_size 320
		.amdhsa_user_sgpr_count 2
		.amdhsa_user_sgpr_dispatch_ptr 0
		.amdhsa_user_sgpr_queue_ptr 0
		.amdhsa_user_sgpr_kernarg_segment_ptr 1
		.amdhsa_user_sgpr_dispatch_id 0
		.amdhsa_user_sgpr_kernarg_preload_length 0
		.amdhsa_user_sgpr_kernarg_preload_offset 0
		.amdhsa_user_sgpr_private_segment_size 0
		.amdhsa_wavefront_size32 1
		.amdhsa_uses_dynamic_stack 0
		.amdhsa_enable_private_segment 0
		.amdhsa_system_sgpr_workgroup_id_x 1
		.amdhsa_system_sgpr_workgroup_id_y 1
		.amdhsa_system_sgpr_workgroup_id_z 0
		.amdhsa_system_sgpr_workgroup_info 0
		.amdhsa_system_vgpr_workitem_id 1
		.amdhsa_next_free_vgpr 4
		.amdhsa_next_free_sgpr 14
		.amdhsa_named_barrier_count 0
		.amdhsa_reserve_vcc 0
		.amdhsa_float_round_mode_32 0
		.amdhsa_float_round_mode_16_64 0
		.amdhsa_float_denorm_mode_32 3
		.amdhsa_float_denorm_mode_16_64 3
		.amdhsa_fp16_overflow 0
		.amdhsa_memory_ordered 1
		.amdhsa_forward_progress 1
		.amdhsa_inst_pref_size 3
		.amdhsa_round_robin_scheduling 0
		.amdhsa_exception_fp_ieee_invalid_op 0
		.amdhsa_exception_fp_denorm_src 0
		.amdhsa_exception_fp_ieee_div_zero 0
		.amdhsa_exception_fp_ieee_overflow 0
		.amdhsa_exception_fp_ieee_underflow 0
		.amdhsa_exception_fp_ieee_inexact 0
		.amdhsa_exception_int_div_zero 0
	.end_amdhsa_kernel
	.section	.text._ZN9rocsolver6v33100L12restore_diagIdidPKPdEEvPT1_llT2_lT0_lS8_,"axG",@progbits,_ZN9rocsolver6v33100L12restore_diagIdidPKPdEEvPT1_llT2_lT0_lS8_,comdat
.Lfunc_end32:
	.size	_ZN9rocsolver6v33100L12restore_diagIdidPKPdEEvPT1_llT2_lT0_lS8_, .Lfunc_end32-_ZN9rocsolver6v33100L12restore_diagIdidPKPdEEvPT1_llT2_lT0_lS8_
                                        ; -- End function
	.set _ZN9rocsolver6v33100L12restore_diagIdidPKPdEEvPT1_llT2_lT0_lS8_.num_vgpr, 4
	.set _ZN9rocsolver6v33100L12restore_diagIdidPKPdEEvPT1_llT2_lT0_lS8_.num_agpr, 0
	.set _ZN9rocsolver6v33100L12restore_diagIdidPKPdEEvPT1_llT2_lT0_lS8_.numbered_sgpr, 14
	.set _ZN9rocsolver6v33100L12restore_diagIdidPKPdEEvPT1_llT2_lT0_lS8_.num_named_barrier, 0
	.set _ZN9rocsolver6v33100L12restore_diagIdidPKPdEEvPT1_llT2_lT0_lS8_.private_seg_size, 0
	.set _ZN9rocsolver6v33100L12restore_diagIdidPKPdEEvPT1_llT2_lT0_lS8_.uses_vcc, 0
	.set _ZN9rocsolver6v33100L12restore_diagIdidPKPdEEvPT1_llT2_lT0_lS8_.uses_flat_scratch, 0
	.set _ZN9rocsolver6v33100L12restore_diagIdidPKPdEEvPT1_llT2_lT0_lS8_.has_dyn_sized_stack, 0
	.set _ZN9rocsolver6v33100L12restore_diagIdidPKPdEEvPT1_llT2_lT0_lS8_.has_recursion, 0
	.set _ZN9rocsolver6v33100L12restore_diagIdidPKPdEEvPT1_llT2_lT0_lS8_.has_indirect_call, 0
	.section	.AMDGPU.csdata,"",@progbits
; Kernel info:
; codeLenInByte = 268
; TotalNumSgprs: 14
; NumVgprs: 4
; ScratchSize: 0
; MemoryBound: 0
; FloatMode: 240
; IeeeMode: 1
; LDSByteSize: 0 bytes/workgroup (compile time only)
; SGPRBlocks: 0
; VGPRBlocks: 0
; NumSGPRsForWavesPerEU: 14
; NumVGPRsForWavesPerEU: 4
; NamedBarCnt: 0
; Occupancy: 16
; WaveLimiterHint : 1
; COMPUTE_PGM_RSRC2:SCRATCH_EN: 0
; COMPUTE_PGM_RSRC2:USER_SGPR: 2
; COMPUTE_PGM_RSRC2:TRAP_HANDLER: 0
; COMPUTE_PGM_RSRC2:TGID_X_EN: 1
; COMPUTE_PGM_RSRC2:TGID_Y_EN: 1
; COMPUTE_PGM_RSRC2:TGID_Z_EN: 0
; COMPUTE_PGM_RSRC2:TIDIG_COMP_CNT: 1
	.section	.text._ZN9rocsolver6v33100L14set_triangularIdPKPdTnNSt9enable_ifIXnt18rocblas_is_complexIT_EEiE4typeELi0EEEviiT0_iilPS6_lSA_il15rocblas_direct_15rocblas_storev_b,"axG",@progbits,_ZN9rocsolver6v33100L14set_triangularIdPKPdTnNSt9enable_ifIXnt18rocblas_is_complexIT_EEiE4typeELi0EEEviiT0_iilPS6_lSA_il15rocblas_direct_15rocblas_storev_b,comdat
	.globl	_ZN9rocsolver6v33100L14set_triangularIdPKPdTnNSt9enable_ifIXnt18rocblas_is_complexIT_EEiE4typeELi0EEEviiT0_iilPS6_lSA_il15rocblas_direct_15rocblas_storev_b ; -- Begin function _ZN9rocsolver6v33100L14set_triangularIdPKPdTnNSt9enable_ifIXnt18rocblas_is_complexIT_EEiE4typeELi0EEEviiT0_iilPS6_lSA_il15rocblas_direct_15rocblas_storev_b
	.p2align	8
	.type	_ZN9rocsolver6v33100L14set_triangularIdPKPdTnNSt9enable_ifIXnt18rocblas_is_complexIT_EEiE4typeELi0EEEviiT0_iilPS6_lSA_il15rocblas_direct_15rocblas_storev_b,@function
_ZN9rocsolver6v33100L14set_triangularIdPKPdTnNSt9enable_ifIXnt18rocblas_is_complexIT_EEiE4typeELi0EEEviiT0_iilPS6_lSA_il15rocblas_direct_15rocblas_storev_b: ; @_ZN9rocsolver6v33100L14set_triangularIdPKPdTnNSt9enable_ifIXnt18rocblas_is_complexIT_EEiE4typeELi0EEEviiT0_iilPS6_lSA_il15rocblas_direct_15rocblas_storev_b
; %bb.0:
	s_clause 0x1
	s_load_b32 s3, s[0:1], 0x64
	s_load_b64 s[18:19], s[0:1], 0x0
	s_bfe_u32 s5, ttmp6, 0x40010
	s_bfe_u32 s8, ttmp6, 0x4000c
	s_and_b32 s4, ttmp7, 0xffff
	s_add_co_i32 s5, s5, 1
	s_add_co_i32 s8, s8, 1
	s_bfe_u32 s6, ttmp6, 0x40004
	s_and_b32 s7, ttmp6, 15
	s_mul_i32 s5, s4, s5
	s_mul_i32 s8, ttmp9, s8
	s_getreg_b32 s2, hwreg(HW_REG_IB_STS2, 6, 4)
	v_and_b32_e32 v1, 0x3ff, v0
	v_bfe_u32 v2, v0, 10, 10
	s_add_co_i32 s6, s6, s5
	s_add_co_i32 s7, s7, s8
	s_mov_b32 s21, 0
	s_wait_kmcnt 0x0
	s_lshr_b32 s5, s3, 16
	s_and_b32 s3, s3, 0xffff
	s_cmp_eq_u32 s2, 0
	s_cselect_b32 s7, ttmp9, s7
	s_cselect_b32 s4, s4, s6
	v_mad_u32 v0, s7, s3, v1
	v_mad_u32 v2, s4, s5, v2
	s_mov_b32 s3, exec_lo
	s_delay_alu instid0(VALU_DEP_1) | instskip(NEXT) | instid1(VALU_DEP_1)
	v_max_u32_e32 v1, v0, v2
	v_cmpx_gt_u32_e64 s19, v1
	s_cbranch_execz .LBB33_36
; %bb.1:
	s_clause 0x2
	s_load_b128 s[4:7], s[0:1], 0x20
	s_load_b64 s[12:13], s[0:1], 0x40
	s_load_b96 s[8:10], s[0:1], 0x30
	s_bfe_u32 s3, ttmp6, 0x40014
	s_lshr_b32 s11, ttmp7, 16
	s_add_co_i32 s3, s3, 1
	s_bfe_u32 s14, ttmp6, 0x40008
	s_mul_i32 s3, s11, s3
	s_delay_alu instid0(SALU_CYCLE_1)
	s_add_co_i32 s14, s14, s3
	s_cmp_eq_u32 s2, 0
	s_cselect_b32 s20, s11, s14
	s_wait_kmcnt 0x0
	s_mul_u64 s[2:3], s[6:7], s[20:21]
	s_mul_u64 s[6:7], s[12:13], s[20:21]
	s_lshl_b64 s[2:3], s[2:3], 3
	s_lshl_b64 s[6:7], s[6:7], 3
	s_add_nc_u64 s[16:17], s[4:5], s[2:3]
	s_add_nc_u64 s[2:3], s[8:9], s[6:7]
	s_mov_b32 s4, exec_lo
	v_cmpx_ne_u32_e64 v2, v0
	s_xor_b32 s8, exec_lo, s4
	s_cbranch_execz .LBB33_34
; %bb.2:
	s_clause 0x1
	s_load_b128 s[4:7], s[0:1], 0x8
	s_load_b96 s[12:14], s[0:1], 0x48
	v_mov_b32_e32 v1, 0
	s_wait_kmcnt 0x0
	s_load_b64 s[0:1], s[4:5], s20 offset:0x0 scale_offset
	s_wait_xcnt 0x0
	s_ashr_i32 s5, s6, 31
	s_mov_b32 s4, s6
	s_delay_alu instid0(SALU_CYCLE_1) | instskip(SKIP_3) | instid1(SALU_CYCLE_1)
	s_lshl_b64 s[20:21], s[4:5], 3
	s_bitcmp1_b32 s14, 0
	s_mov_b32 s5, -1
	s_cselect_b32 s4, -1, 0
	s_xor_b32 s4, s4, -1
	s_cmp_lg_u32 s12, 0xab
	s_wait_kmcnt 0x0
	s_add_nc_u64 s[0:1], s[0:1], s[20:21]
	s_cbranch_scc0 .LBB33_18
; %bb.3:
	s_mov_b32 s5, exec_lo
	v_cmpx_le_u32_e64 v2, v0
	s_xor_b32 s5, exec_lo, s5
	s_cbranch_execz .LBB33_5
; %bb.4:
	s_ashr_i32 s15, s10, 31
	s_mov_b32 s14, s10
	v_mov_b32_e32 v3, 0
	v_mul_u64_e32 v[4:5], s[14:15], v[0:1]
	v_mov_b64_e32 v[6:7], 0
	s_delay_alu instid0(VALU_DEP_2) | instskip(NEXT) | instid1(VALU_DEP_1)
	v_lshl_add_u64 v[4:5], v[4:5], 3, s[2:3]
	v_lshl_add_u64 v[4:5], v[2:3], 3, v[4:5]
	global_store_b64 v[4:5], v[6:7], off
.LBB33_5:
	s_wait_xcnt 0x0
	s_and_not1_saveexec_b32 s5, s5
	s_cbranch_execz .LBB33_17
; %bb.6:
	v_lshl_add_u64 v[4:5], v[0:1], 3, s[16:17]
	s_cmp_lg_u32 s13, 0xb5
	s_mov_b32 s6, -1
	global_load_b64 v[4:5], v[4:5], off
	s_cbranch_scc0 .LBB33_12
; %bb.7:
	v_mov_b32_e32 v3, 0
	s_and_not1_b32 vcc_lo, exec_lo, s4
	s_delay_alu instid0(VALU_DEP_1)
	v_lshlrev_b64_e32 v[6:7], 3, v[2:3]
	s_cbranch_vccnz .LBB33_9
; %bb.8:
	s_sub_co_i32 s6, s18, s19
	s_ashr_i32 s15, s7, 31
	v_dual_mov_b32 v9, v3 :: v_dual_add_nc_u32 v8, s6, v0
	s_mov_b32 s14, s7
	s_mov_b32 s6, 0
	s_delay_alu instid0(VALU_DEP_1) | instskip(SKIP_2) | instid1(SALU_CYCLE_1)
	v_mul_u64_e32 v[8:9], s[14:15], v[8:9]
	s_ashr_i32 s15, s10, 31
	s_mov_b32 s14, s10
	v_mul_u64_e32 v[10:11], s[14:15], v[0:1]
	s_delay_alu instid0(VALU_DEP_2) | instskip(NEXT) | instid1(VALU_DEP_2)
	v_lshl_add_u64 v[8:9], v[8:9], 3, s[0:1]
	v_lshl_add_u64 v[10:11], v[10:11], 3, s[2:3]
	s_delay_alu instid0(VALU_DEP_2) | instskip(NEXT) | instid1(VALU_DEP_2)
	v_add_nc_u64_e32 v[8:9], v[8:9], v[6:7]
	v_add_nc_u64_e32 v[10:11], v[10:11], v[6:7]
	flat_load_b64 v[8:9], v[8:9]
	s_wait_loadcnt_dscnt 0x0
	v_mul_f64_e64 v[8:9], v[8:9], -v[4:5]
	global_store_b64 v[10:11], v[8:9], off
.LBB33_9:
	s_and_not1_b32 vcc_lo, exec_lo, s6
	s_cbranch_vccnz .LBB33_11
; %bb.10:
	s_sub_co_i32 s6, s18, s19
	s_ashr_i32 s15, s10, 31
	s_wait_xcnt 0x0
	v_dual_mov_b32 v9, 0 :: v_dual_add_nc_u32 v8, s6, v0
	s_mov_b32 s14, s10
	s_ashr_i32 s21, s7, 31
	s_mov_b32 s20, s7
	v_mul_u64_e32 v[10:11], s[14:15], v[0:1]
	v_mul_u64_e32 v[8:9], s[20:21], v[8:9]
	s_delay_alu instid0(VALU_DEP_2) | instskip(NEXT) | instid1(VALU_DEP_2)
	v_lshl_add_u64 v[10:11], v[10:11], 3, s[2:3]
	v_lshl_add_u64 v[8:9], v[8:9], 3, s[0:1]
	s_delay_alu instid0(VALU_DEP_2) | instskip(NEXT) | instid1(VALU_DEP_2)
	v_add_nc_u64_e32 v[10:11], v[10:11], v[6:7]
	v_add_nc_u64_e32 v[6:7], v[8:9], v[6:7]
	global_load_b64 v[8:9], v[10:11], off
	flat_load_b64 v[12:13], v[6:7]
	s_wait_loadcnt_dscnt 0x0
	v_add_f64_e32 v[6:7], v[8:9], v[12:13]
	s_delay_alu instid0(VALU_DEP_1)
	v_mul_f64_e64 v[6:7], v[6:7], -v[4:5]
	global_store_b64 v[10:11], v[6:7], off
.LBB33_11:
	s_mov_b32 s6, 0
.LBB33_12:
	s_delay_alu instid0(SALU_CYCLE_1)
	s_and_not1_b32 vcc_lo, exec_lo, s6
	s_cbranch_vccnz .LBB33_17
; %bb.13:
	s_and_not1_b32 vcc_lo, exec_lo, s4
	s_mov_b32 s6, -1
	s_cbranch_vccnz .LBB33_15
; %bb.14:
	s_sub_co_i32 s6, s18, s19
	s_wait_xcnt 0x0
	v_dual_mov_b32 v7, 0 :: v_dual_add_nc_u32 v6, s6, v0
	s_ashr_i32 s15, s7, 31
	s_mov_b32 s14, s7
	s_mov_b32 s6, 0
	s_delay_alu instid0(VALU_DEP_1) | instskip(NEXT) | instid1(VALU_DEP_1)
	v_mov_b32_e32 v3, v7
	v_mul_u64_e32 v[8:9], s[14:15], v[2:3]
	s_ashr_i32 s15, s10, 31
	s_mov_b32 s14, s10
	s_delay_alu instid0(VALU_DEP_1) | instskip(NEXT) | instid1(VALU_DEP_1)
	v_lshl_add_u64 v[8:9], v[8:9], 3, s[0:1]
	v_lshl_add_u64 v[6:7], v[6:7], 3, v[8:9]
	v_mul_u64_e32 v[8:9], s[14:15], v[0:1]
	flat_load_b64 v[6:7], v[6:7]
	v_lshl_add_u64 v[8:9], v[8:9], 3, s[2:3]
	s_delay_alu instid0(VALU_DEP_1)
	v_lshl_add_u64 v[8:9], v[2:3], 3, v[8:9]
	s_wait_loadcnt_dscnt 0x0
	v_mul_f64_e64 v[6:7], v[6:7], -v[4:5]
	global_store_b64 v[8:9], v[6:7], off
.LBB33_15:
	s_and_not1_b32 vcc_lo, exec_lo, s6
	s_cbranch_vccnz .LBB33_17
; %bb.16:
	s_sub_co_i32 s6, s18, s19
	s_wait_xcnt 0x0
	v_dual_mov_b32 v3, 0 :: v_dual_add_nc_u32 v10, s6, v0
	s_ashr_i32 s15, s10, 31
	s_mov_b32 s14, s10
	s_delay_alu instid0(SALU_CYCLE_1) | instskip(SKIP_4) | instid1(VALU_DEP_3)
	v_mul_u64_e32 v[6:7], s[14:15], v[0:1]
	s_ashr_i32 s15, s7, 31
	s_mov_b32 s14, s7
	v_mov_b32_e32 v11, v3
	v_mul_u64_e32 v[8:9], s[14:15], v[2:3]
	v_lshl_add_u64 v[6:7], v[6:7], 3, s[2:3]
	s_delay_alu instid0(VALU_DEP_2) | instskip(NEXT) | instid1(VALU_DEP_2)
	v_lshl_add_u64 v[8:9], v[8:9], 3, s[0:1]
	v_lshl_add_u64 v[6:7], v[2:3], 3, v[6:7]
	s_delay_alu instid0(VALU_DEP_2) | instskip(SKIP_4) | instid1(VALU_DEP_1)
	v_lshl_add_u64 v[8:9], v[10:11], 3, v[8:9]
	global_load_b64 v[10:11], v[6:7], off
	flat_load_b64 v[12:13], v[8:9]
	s_wait_loadcnt_dscnt 0x0
	v_add_f64_e32 v[8:9], v[10:11], v[12:13]
	v_mul_f64_e64 v[4:5], v[8:9], -v[4:5]
	global_store_b64 v[6:7], v[4:5], off
.LBB33_17:
	s_wait_xcnt 0x0
	s_or_b32 exec_lo, exec_lo, s5
	s_mov_b32 s5, 0
.LBB33_18:
	s_delay_alu instid0(SALU_CYCLE_1)
	s_and_not1_b32 vcc_lo, exec_lo, s5
	s_cbranch_vccnz .LBB33_34
; %bb.19:
	s_mov_b32 s5, exec_lo
	v_cmpx_ge_u32_e64 v2, v0
	s_xor_b32 s5, exec_lo, s5
	s_cbranch_execz .LBB33_21
; %bb.20:
	s_ashr_i32 s15, s10, 31
	s_mov_b32 s14, s10
	v_mov_b32_e32 v3, 0
	v_mul_u64_e32 v[0:1], s[14:15], v[0:1]
	s_wait_loadcnt 0x0
	v_mov_b64_e32 v[4:5], 0
	s_delay_alu instid0(VALU_DEP_2) | instskip(NEXT) | instid1(VALU_DEP_1)
	v_lshl_add_u64 v[0:1], v[0:1], 3, s[2:3]
	v_lshl_add_u64 v[0:1], v[2:3], 3, v[0:1]
                                        ; implicit-def: $vgpr2
	global_store_b64 v[0:1], v[4:5], off
                                        ; implicit-def: $vgpr0_vgpr1
.LBB33_21:
	s_wait_xcnt 0x0
	s_and_not1_saveexec_b32 s5, s5
	s_cbranch_execz .LBB33_33
; %bb.22:
	s_wait_loadcnt 0x0
	v_lshl_add_u64 v[4:5], v[0:1], 3, s[16:17]
	v_cndmask_b32_e64 v6, 0, 1, s4
	v_mov_b32_e32 v3, 0
	s_cmp_lg_u32 s13, 0xb5
	s_mov_b32 s6, -1
	global_load_b64 v[4:5], v[4:5], off
	v_cmp_ne_u32_e32 vcc_lo, 1, v6
	s_cbranch_scc0 .LBB33_28
; %bb.23:
	v_lshlrev_b64_e32 v[6:7], 3, v[2:3]
	s_and_b32 vcc_lo, exec_lo, vcc_lo
	s_cbranch_vccnz .LBB33_25
; %bb.24:
	s_ashr_i32 s13, s7, 31
	s_mov_b32 s12, s7
	s_mov_b32 s6, 0
	v_mul_u64_e32 v[8:9], s[12:13], v[0:1]
	s_ashr_i32 s13, s10, 31
	s_mov_b32 s12, s10
	s_delay_alu instid0(SALU_CYCLE_1) | instskip(NEXT) | instid1(VALU_DEP_2)
	v_mul_u64_e32 v[10:11], s[12:13], v[0:1]
	v_lshl_add_u64 v[8:9], v[8:9], 3, s[0:1]
	s_delay_alu instid0(VALU_DEP_2) | instskip(NEXT) | instid1(VALU_DEP_2)
	v_lshl_add_u64 v[10:11], v[10:11], 3, s[2:3]
	v_add_nc_u64_e32 v[8:9], v[8:9], v[6:7]
	s_delay_alu instid0(VALU_DEP_2)
	v_add_nc_u64_e32 v[10:11], v[10:11], v[6:7]
	flat_load_b64 v[8:9], v[8:9]
	s_wait_loadcnt_dscnt 0x0
	v_mul_f64_e64 v[8:9], v[8:9], -v[4:5]
	global_store_b64 v[10:11], v[8:9], off
.LBB33_25:
	s_and_not1_b32 vcc_lo, exec_lo, s6
	s_cbranch_vccnz .LBB33_27
; %bb.26:
	s_ashr_i32 s13, s10, 31
	s_mov_b32 s12, s10
	s_ashr_i32 s15, s7, 31
	s_mov_b32 s14, s7
	s_wait_xcnt 0x0
	v_mul_u64_e32 v[8:9], s[12:13], v[0:1]
	v_mul_u64_e32 v[10:11], s[14:15], v[0:1]
	s_delay_alu instid0(VALU_DEP_2) | instskip(NEXT) | instid1(VALU_DEP_2)
	v_lshl_add_u64 v[8:9], v[8:9], 3, s[2:3]
	v_lshl_add_u64 v[10:11], v[10:11], 3, s[0:1]
	s_delay_alu instid0(VALU_DEP_2) | instskip(NEXT) | instid1(VALU_DEP_2)
	v_add_nc_u64_e32 v[8:9], v[8:9], v[6:7]
	v_add_nc_u64_e32 v[6:7], v[10:11], v[6:7]
	global_load_b64 v[10:11], v[8:9], off
	flat_load_b64 v[12:13], v[6:7]
	s_wait_loadcnt_dscnt 0x0
	v_add_f64_e32 v[6:7], v[10:11], v[12:13]
	s_delay_alu instid0(VALU_DEP_1)
	v_mul_f64_e64 v[6:7], v[6:7], -v[4:5]
	global_store_b64 v[8:9], v[6:7], off
.LBB33_27:
	s_mov_b32 s6, 0
.LBB33_28:
	s_delay_alu instid0(SALU_CYCLE_1)
	s_and_not1_b32 vcc_lo, exec_lo, s6
	s_cbranch_vccnz .LBB33_33
; %bb.29:
	s_and_not1_b32 vcc_lo, exec_lo, s4
	s_mov_b32 s4, -1
	s_cbranch_vccnz .LBB33_31
; %bb.30:
	s_ashr_i32 s13, s7, 31
	s_mov_b32 s12, s7
	s_mov_b32 s4, 0
	s_wait_xcnt 0x0
	v_mul_u64_e32 v[6:7], s[12:13], v[2:3]
	s_ashr_i32 s13, s10, 31
	s_mov_b32 s12, s10
	s_delay_alu instid0(SALU_CYCLE_1) | instskip(NEXT) | instid1(VALU_DEP_2)
	v_mul_u64_e32 v[8:9], s[12:13], v[0:1]
	v_lshl_add_u64 v[6:7], v[6:7], 3, s[0:1]
	s_delay_alu instid0(VALU_DEP_2) | instskip(NEXT) | instid1(VALU_DEP_2)
	v_lshl_add_u64 v[8:9], v[8:9], 3, s[2:3]
	v_lshl_add_u64 v[6:7], v[0:1], 3, v[6:7]
	s_delay_alu instid0(VALU_DEP_2)
	v_lshl_add_u64 v[8:9], v[2:3], 3, v[8:9]
	flat_load_b64 v[6:7], v[6:7]
	s_wait_loadcnt_dscnt 0x0
	v_mul_f64_e64 v[6:7], v[6:7], -v[4:5]
	global_store_b64 v[8:9], v[6:7], off
.LBB33_31:
	s_and_not1_b32 vcc_lo, exec_lo, s4
	s_cbranch_vccnz .LBB33_33
; %bb.32:
	s_ashr_i32 s13, s10, 31
	s_mov_b32 s12, s10
	s_ashr_i32 s15, s7, 31
	s_mov_b32 s14, s7
	s_wait_xcnt 0x0
	v_mul_u64_e32 v[6:7], s[12:13], v[0:1]
	v_mul_u64_e32 v[8:9], s[14:15], v[2:3]
	s_delay_alu instid0(VALU_DEP_2) | instskip(NEXT) | instid1(VALU_DEP_2)
	v_lshl_add_u64 v[6:7], v[6:7], 3, s[2:3]
	v_lshl_add_u64 v[8:9], v[8:9], 3, s[0:1]
	s_delay_alu instid0(VALU_DEP_2) | instskip(NEXT) | instid1(VALU_DEP_2)
	v_lshl_add_u64 v[2:3], v[2:3], 3, v[6:7]
	v_lshl_add_u64 v[0:1], v[0:1], 3, v[8:9]
	global_load_b64 v[6:7], v[2:3], off
	flat_load_b64 v[8:9], v[0:1]
	s_wait_loadcnt_dscnt 0x0
	v_add_f64_e32 v[0:1], v[6:7], v[8:9]
	s_delay_alu instid0(VALU_DEP_1)
	v_mul_f64_e64 v[0:1], v[0:1], -v[4:5]
	global_store_b64 v[2:3], v[0:1], off
.LBB33_33:
	s_wait_xcnt 0x0
	s_or_b32 exec_lo, exec_lo, s5
                                        ; implicit-def: $vgpr0
.LBB33_34:
	s_and_not1_saveexec_b32 s0, s8
	s_cbranch_execz .LBB33_36
; %bb.35:
	global_load_b64 v[2:3], v0, s[16:17] scale_offset
	v_mov_b32_e32 v1, 0
	s_ashr_i32 s1, s10, 31
	s_mov_b32 s0, s10
	s_wait_loadcnt 0x1
	s_delay_alu instid0(VALU_DEP_1) | instskip(SKIP_2) | instid1(VALU_DEP_2)
	v_mul_u64_e32 v[4:5], s[0:1], v[0:1]
	s_wait_xcnt 0x0
	v_lshlrev_b64_e32 v[0:1], 3, v[0:1]
	v_lshl_add_u64 v[4:5], v[4:5], 3, s[2:3]
	s_delay_alu instid0(VALU_DEP_1)
	v_add_nc_u64_e32 v[0:1], v[4:5], v[0:1]
	s_wait_loadcnt 0x0
	global_store_b64 v[0:1], v[2:3], off
.LBB33_36:
	s_endpgm
	.section	.rodata,"a",@progbits
	.p2align	6, 0x0
	.amdhsa_kernel _ZN9rocsolver6v33100L14set_triangularIdPKPdTnNSt9enable_ifIXnt18rocblas_is_complexIT_EEiE4typeELi0EEEviiT0_iilPS6_lSA_il15rocblas_direct_15rocblas_storev_b
		.amdhsa_group_segment_fixed_size 0
		.amdhsa_private_segment_fixed_size 0
		.amdhsa_kernarg_size 344
		.amdhsa_user_sgpr_count 2
		.amdhsa_user_sgpr_dispatch_ptr 0
		.amdhsa_user_sgpr_queue_ptr 0
		.amdhsa_user_sgpr_kernarg_segment_ptr 1
		.amdhsa_user_sgpr_dispatch_id 0
		.amdhsa_user_sgpr_kernarg_preload_length 0
		.amdhsa_user_sgpr_kernarg_preload_offset 0
		.amdhsa_user_sgpr_private_segment_size 0
		.amdhsa_wavefront_size32 1
		.amdhsa_uses_dynamic_stack 0
		.amdhsa_enable_private_segment 0
		.amdhsa_system_sgpr_workgroup_id_x 1
		.amdhsa_system_sgpr_workgroup_id_y 1
		.amdhsa_system_sgpr_workgroup_id_z 1
		.amdhsa_system_sgpr_workgroup_info 0
		.amdhsa_system_vgpr_workitem_id 1
		.amdhsa_next_free_vgpr 14
		.amdhsa_next_free_sgpr 22
		.amdhsa_named_barrier_count 0
		.amdhsa_reserve_vcc 1
		.amdhsa_float_round_mode_32 0
		.amdhsa_float_round_mode_16_64 0
		.amdhsa_float_denorm_mode_32 3
		.amdhsa_float_denorm_mode_16_64 3
		.amdhsa_fp16_overflow 0
		.amdhsa_memory_ordered 1
		.amdhsa_forward_progress 1
		.amdhsa_inst_pref_size 15
		.amdhsa_round_robin_scheduling 0
		.amdhsa_exception_fp_ieee_invalid_op 0
		.amdhsa_exception_fp_denorm_src 0
		.amdhsa_exception_fp_ieee_div_zero 0
		.amdhsa_exception_fp_ieee_overflow 0
		.amdhsa_exception_fp_ieee_underflow 0
		.amdhsa_exception_fp_ieee_inexact 0
		.amdhsa_exception_int_div_zero 0
	.end_amdhsa_kernel
	.section	.text._ZN9rocsolver6v33100L14set_triangularIdPKPdTnNSt9enable_ifIXnt18rocblas_is_complexIT_EEiE4typeELi0EEEviiT0_iilPS6_lSA_il15rocblas_direct_15rocblas_storev_b,"axG",@progbits,_ZN9rocsolver6v33100L14set_triangularIdPKPdTnNSt9enable_ifIXnt18rocblas_is_complexIT_EEiE4typeELi0EEEviiT0_iilPS6_lSA_il15rocblas_direct_15rocblas_storev_b,comdat
.Lfunc_end33:
	.size	_ZN9rocsolver6v33100L14set_triangularIdPKPdTnNSt9enable_ifIXnt18rocblas_is_complexIT_EEiE4typeELi0EEEviiT0_iilPS6_lSA_il15rocblas_direct_15rocblas_storev_b, .Lfunc_end33-_ZN9rocsolver6v33100L14set_triangularIdPKPdTnNSt9enable_ifIXnt18rocblas_is_complexIT_EEiE4typeELi0EEEviiT0_iilPS6_lSA_il15rocblas_direct_15rocblas_storev_b
                                        ; -- End function
	.set _ZN9rocsolver6v33100L14set_triangularIdPKPdTnNSt9enable_ifIXnt18rocblas_is_complexIT_EEiE4typeELi0EEEviiT0_iilPS6_lSA_il15rocblas_direct_15rocblas_storev_b.num_vgpr, 14
	.set _ZN9rocsolver6v33100L14set_triangularIdPKPdTnNSt9enable_ifIXnt18rocblas_is_complexIT_EEiE4typeELi0EEEviiT0_iilPS6_lSA_il15rocblas_direct_15rocblas_storev_b.num_agpr, 0
	.set _ZN9rocsolver6v33100L14set_triangularIdPKPdTnNSt9enable_ifIXnt18rocblas_is_complexIT_EEiE4typeELi0EEEviiT0_iilPS6_lSA_il15rocblas_direct_15rocblas_storev_b.numbered_sgpr, 22
	.set _ZN9rocsolver6v33100L14set_triangularIdPKPdTnNSt9enable_ifIXnt18rocblas_is_complexIT_EEiE4typeELi0EEEviiT0_iilPS6_lSA_il15rocblas_direct_15rocblas_storev_b.num_named_barrier, 0
	.set _ZN9rocsolver6v33100L14set_triangularIdPKPdTnNSt9enable_ifIXnt18rocblas_is_complexIT_EEiE4typeELi0EEEviiT0_iilPS6_lSA_il15rocblas_direct_15rocblas_storev_b.private_seg_size, 0
	.set _ZN9rocsolver6v33100L14set_triangularIdPKPdTnNSt9enable_ifIXnt18rocblas_is_complexIT_EEiE4typeELi0EEEviiT0_iilPS6_lSA_il15rocblas_direct_15rocblas_storev_b.uses_vcc, 1
	.set _ZN9rocsolver6v33100L14set_triangularIdPKPdTnNSt9enable_ifIXnt18rocblas_is_complexIT_EEiE4typeELi0EEEviiT0_iilPS6_lSA_il15rocblas_direct_15rocblas_storev_b.uses_flat_scratch, 0
	.set _ZN9rocsolver6v33100L14set_triangularIdPKPdTnNSt9enable_ifIXnt18rocblas_is_complexIT_EEiE4typeELi0EEEviiT0_iilPS6_lSA_il15rocblas_direct_15rocblas_storev_b.has_dyn_sized_stack, 0
	.set _ZN9rocsolver6v33100L14set_triangularIdPKPdTnNSt9enable_ifIXnt18rocblas_is_complexIT_EEiE4typeELi0EEEviiT0_iilPS6_lSA_il15rocblas_direct_15rocblas_storev_b.has_recursion, 0
	.set _ZN9rocsolver6v33100L14set_triangularIdPKPdTnNSt9enable_ifIXnt18rocblas_is_complexIT_EEiE4typeELi0EEEviiT0_iilPS6_lSA_il15rocblas_direct_15rocblas_storev_b.has_indirect_call, 0
	.section	.AMDGPU.csdata,"",@progbits
; Kernel info:
; codeLenInByte = 1848
; TotalNumSgprs: 24
; NumVgprs: 14
; ScratchSize: 0
; MemoryBound: 0
; FloatMode: 240
; IeeeMode: 1
; LDSByteSize: 0 bytes/workgroup (compile time only)
; SGPRBlocks: 0
; VGPRBlocks: 0
; NumSGPRsForWavesPerEU: 24
; NumVGPRsForWavesPerEU: 14
; NamedBarCnt: 0
; Occupancy: 16
; WaveLimiterHint : 1
; COMPUTE_PGM_RSRC2:SCRATCH_EN: 0
; COMPUTE_PGM_RSRC2:USER_SGPR: 2
; COMPUTE_PGM_RSRC2:TRAP_HANDLER: 0
; COMPUTE_PGM_RSRC2:TGID_X_EN: 1
; COMPUTE_PGM_RSRC2:TGID_Y_EN: 1
; COMPUTE_PGM_RSRC2:TGID_Z_EN: 1
; COMPUTE_PGM_RSRC2:TIDIG_COMP_CNT: 1
	.section	.text._ZN9rocsolver6v33100L7set_tauIdEEviPT_l,"axG",@progbits,_ZN9rocsolver6v33100L7set_tauIdEEviPT_l,comdat
	.globl	_ZN9rocsolver6v33100L7set_tauIdEEviPT_l ; -- Begin function _ZN9rocsolver6v33100L7set_tauIdEEviPT_l
	.p2align	8
	.type	_ZN9rocsolver6v33100L7set_tauIdEEviPT_l,@function
_ZN9rocsolver6v33100L7set_tauIdEEviPT_l: ; @_ZN9rocsolver6v33100L7set_tauIdEEviPT_l
; %bb.0:
	s_clause 0x1
	s_load_b32 s3, s[0:1], 0x24
	s_load_b32 s4, s[0:1], 0x0
	s_bfe_u32 s2, ttmp6, 0x4000c
	s_and_b32 s5, ttmp6, 15
	s_add_co_i32 s6, s2, 1
	s_getreg_b32 s2, hwreg(HW_REG_IB_STS2, 6, 4)
	s_mul_i32 s6, ttmp9, s6
	s_delay_alu instid0(SALU_CYCLE_1) | instskip(SKIP_4) | instid1(SALU_CYCLE_1)
	s_add_co_i32 s5, s5, s6
	s_wait_kmcnt 0x0
	s_and_b32 s3, s3, 0xffff
	s_cmp_eq_u32 s2, 0
	s_cselect_b32 s5, ttmp9, s5
	v_mad_u32 v0, s5, s3, v0
	s_mov_b32 s3, 0
	s_delay_alu instid0(VALU_DEP_1)
	v_cmp_gt_u32_e32 vcc_lo, s4, v0
	s_and_saveexec_b32 s4, vcc_lo
	s_cbranch_execz .LBB34_2
; %bb.1:
	s_load_b128 s[4:7], s[0:1], 0x8
	s_wait_xcnt 0x0
	s_bfe_u32 s0, ttmp6, 0x40010
	s_bfe_u32 s1, ttmp6, 0x40004
	s_add_co_i32 s0, s0, 1
	s_delay_alu instid0(SALU_CYCLE_1) | instskip(NEXT) | instid1(SALU_CYCLE_1)
	s_mul_i32 s0, ttmp7, s0
	s_add_co_i32 s1, s1, s0
	s_cmp_eq_u32 s2, 0
	s_cselect_b32 s2, ttmp7, s1
	s_wait_kmcnt 0x0
	s_mul_u64 s[0:1], s[6:7], s[2:3]
	s_delay_alu instid0(SALU_CYCLE_1) | instskip(NEXT) | instid1(SALU_CYCLE_1)
	s_lshl_b64 s[0:1], s[0:1], 3
	s_add_nc_u64 s[0:1], s[4:5], s[0:1]
	global_load_b64 v[2:3], v0, s[0:1] scale_offset
	s_wait_loadcnt 0x0
	v_xor_b32_e32 v3, 0x80000000, v3
	global_store_b64 v0, v[2:3], s[0:1] scale_offset
.LBB34_2:
	s_endpgm
	.section	.rodata,"a",@progbits
	.p2align	6, 0x0
	.amdhsa_kernel _ZN9rocsolver6v33100L7set_tauIdEEviPT_l
		.amdhsa_group_segment_fixed_size 0
		.amdhsa_private_segment_fixed_size 0
		.amdhsa_kernarg_size 280
		.amdhsa_user_sgpr_count 2
		.amdhsa_user_sgpr_dispatch_ptr 0
		.amdhsa_user_sgpr_queue_ptr 0
		.amdhsa_user_sgpr_kernarg_segment_ptr 1
		.amdhsa_user_sgpr_dispatch_id 0
		.amdhsa_user_sgpr_kernarg_preload_length 0
		.amdhsa_user_sgpr_kernarg_preload_offset 0
		.amdhsa_user_sgpr_private_segment_size 0
		.amdhsa_wavefront_size32 1
		.amdhsa_uses_dynamic_stack 0
		.amdhsa_enable_private_segment 0
		.amdhsa_system_sgpr_workgroup_id_x 1
		.amdhsa_system_sgpr_workgroup_id_y 1
		.amdhsa_system_sgpr_workgroup_id_z 0
		.amdhsa_system_sgpr_workgroup_info 0
		.amdhsa_system_vgpr_workitem_id 0
		.amdhsa_next_free_vgpr 4
		.amdhsa_next_free_sgpr 8
		.amdhsa_named_barrier_count 0
		.amdhsa_reserve_vcc 1
		.amdhsa_float_round_mode_32 0
		.amdhsa_float_round_mode_16_64 0
		.amdhsa_float_denorm_mode_32 3
		.amdhsa_float_denorm_mode_16_64 3
		.amdhsa_fp16_overflow 0
		.amdhsa_memory_ordered 1
		.amdhsa_forward_progress 1
		.amdhsa_inst_pref_size 2
		.amdhsa_round_robin_scheduling 0
		.amdhsa_exception_fp_ieee_invalid_op 0
		.amdhsa_exception_fp_denorm_src 0
		.amdhsa_exception_fp_ieee_div_zero 0
		.amdhsa_exception_fp_ieee_overflow 0
		.amdhsa_exception_fp_ieee_underflow 0
		.amdhsa_exception_fp_ieee_inexact 0
		.amdhsa_exception_int_div_zero 0
	.end_amdhsa_kernel
	.section	.text._ZN9rocsolver6v33100L7set_tauIdEEviPT_l,"axG",@progbits,_ZN9rocsolver6v33100L7set_tauIdEEviPT_l,comdat
.Lfunc_end34:
	.size	_ZN9rocsolver6v33100L7set_tauIdEEviPT_l, .Lfunc_end34-_ZN9rocsolver6v33100L7set_tauIdEEviPT_l
                                        ; -- End function
	.set _ZN9rocsolver6v33100L7set_tauIdEEviPT_l.num_vgpr, 4
	.set _ZN9rocsolver6v33100L7set_tauIdEEviPT_l.num_agpr, 0
	.set _ZN9rocsolver6v33100L7set_tauIdEEviPT_l.numbered_sgpr, 8
	.set _ZN9rocsolver6v33100L7set_tauIdEEviPT_l.num_named_barrier, 0
	.set _ZN9rocsolver6v33100L7set_tauIdEEviPT_l.private_seg_size, 0
	.set _ZN9rocsolver6v33100L7set_tauIdEEviPT_l.uses_vcc, 1
	.set _ZN9rocsolver6v33100L7set_tauIdEEviPT_l.uses_flat_scratch, 0
	.set _ZN9rocsolver6v33100L7set_tauIdEEviPT_l.has_dyn_sized_stack, 0
	.set _ZN9rocsolver6v33100L7set_tauIdEEviPT_l.has_recursion, 0
	.set _ZN9rocsolver6v33100L7set_tauIdEEviPT_l.has_indirect_call, 0
	.section	.AMDGPU.csdata,"",@progbits
; Kernel info:
; codeLenInByte = 212
; TotalNumSgprs: 10
; NumVgprs: 4
; ScratchSize: 0
; MemoryBound: 0
; FloatMode: 240
; IeeeMode: 1
; LDSByteSize: 0 bytes/workgroup (compile time only)
; SGPRBlocks: 0
; VGPRBlocks: 0
; NumSGPRsForWavesPerEU: 10
; NumVGPRsForWavesPerEU: 4
; NamedBarCnt: 0
; Occupancy: 16
; WaveLimiterHint : 0
; COMPUTE_PGM_RSRC2:SCRATCH_EN: 0
; COMPUTE_PGM_RSRC2:USER_SGPR: 2
; COMPUTE_PGM_RSRC2:TRAP_HANDLER: 0
; COMPUTE_PGM_RSRC2:TGID_X_EN: 1
; COMPUTE_PGM_RSRC2:TGID_Y_EN: 1
; COMPUTE_PGM_RSRC2:TGID_Z_EN: 0
; COMPUTE_PGM_RSRC2:TIDIG_COMP_CNT: 0
	.section	.text._ZN9rocsolver6v33100L20larft_kernel_forwardIdPKPdEEv15rocblas_storev_iiT0_iilPT_lS8_il,"axG",@progbits,_ZN9rocsolver6v33100L20larft_kernel_forwardIdPKPdEEv15rocblas_storev_iiT0_iilPT_lS8_il,comdat
	.globl	_ZN9rocsolver6v33100L20larft_kernel_forwardIdPKPdEEv15rocblas_storev_iiT0_iilPT_lS8_il ; -- Begin function _ZN9rocsolver6v33100L20larft_kernel_forwardIdPKPdEEv15rocblas_storev_iiT0_iilPT_lS8_il
	.p2align	8
	.type	_ZN9rocsolver6v33100L20larft_kernel_forwardIdPKPdEEv15rocblas_storev_iiT0_iilPT_lS8_il,@function
_ZN9rocsolver6v33100L20larft_kernel_forwardIdPKPdEEv15rocblas_storev_iiT0_iilPT_lS8_il: ; @_ZN9rocsolver6v33100L20larft_kernel_forwardIdPKPdEEv15rocblas_storev_iiT0_iilPT_lS8_il
; %bb.0:
	s_clause 0x1
	s_load_b32 s2, s[0:1], 0x5c
	s_load_b64 s[4:5], s[0:1], 0x10
	s_bfe_u32 s3, ttmp6, 0x40010
	s_bfe_u32 s6, ttmp6, 0x40004
	s_add_co_i32 s3, s3, 1
	s_getreg_b32 s7, hwreg(HW_REG_IB_STS2, 6, 4)
	s_mul_i32 s11, ttmp7, s3
	s_clause 0x1
	s_load_b96 s[8:10], s[0:1], 0x38
	s_load_b96 s[12:14], s[0:1], 0x0
	s_add_co_i32 s6, s6, s11
	s_load_b64 s[20:21], s[0:1], 0x48
	v_lshlrev_b32_e32 v2, 3, v0
	s_mov_b32 s11, 0
	s_wait_kmcnt 0x0
	s_and_b32 s3, s2, 0xffff
	s_cmp_eq_u32 s7, 0
	s_cselect_b32 s18, ttmp7, s6
	s_delay_alu instid0(SALU_CYCLE_1)
	s_ashr_i32 s19, s18, 31
	v_mad_u32 v1, v0, s10, v0
	s_lshl_b64 s[6:7], s[18:19], 3
	v_cmp_gt_i32_e64 s2, s14, v0
	s_add_nc_u64 s[22:23], s[4:5], s[6:7]
	s_load_b128 s[4:7], s[0:1], 0x28
	s_load_b64 s[16:17], s[22:23], 0x0
	s_mul_u64 s[20:21], s[20:21], s[18:19]
	s_delay_alu instid0(SALU_CYCLE_1) | instskip(NEXT) | instid1(SALU_CYCLE_1)
	s_lshl_b64 s[20:21], s[20:21], 3
	s_add_nc_u64 s[8:9], s[8:9], s[20:21]
	s_and_saveexec_b32 s15, s2
	s_cbranch_execz .LBB35_5
; %bb.1:
	v_dual_add_nc_u32 v3, 8, v2 :: v_dual_mov_b32 v5, v0
	s_lshl_b32 s20, s14, 3
	s_wait_xcnt 0x0
	s_add_co_i32 s22, s10, 1
	s_add_co_i32 s21, s20, 8
	v_mul_lo_u32 v4, s14, v3
	v_mad_u32 v3, v0, s10, v0
	s_mul_i32 s21, s21, s3
	s_mul_i32 s22, s22, s3
	s_delay_alu instid0(VALU_DEP_2)
	v_add3_u32 v4, v4, v2, 0
.LBB35_2:                               ; =>This Loop Header: Depth=1
                                        ;     Child Loop BB35_3 Depth 2
	s_delay_alu instid0(VALU_DEP_1)
	v_dual_mov_b32 v6, v3 :: v_dual_mov_b32 v7, v4
	v_mov_b32_e32 v8, v5
	s_mov_b32 s23, 0
.LBB35_3:                               ;   Parent Loop BB35_2 Depth=1
                                        ; =>  This Inner Loop Header: Depth=2
	global_load_b64 v[10:11], v6, s[8:9] scale_offset
	s_wait_xcnt 0x0
	v_dual_add_nc_u32 v8, 1, v8 :: v_dual_add_nc_u32 v6, s10, v6
	s_delay_alu instid0(VALU_DEP_1)
	v_cmp_le_i32_e32 vcc_lo, s14, v8
	s_or_b32 s23, vcc_lo, s23
	s_wait_loadcnt 0x0
	ds_store_b64 v7, v[10:11]
	v_add_nc_u32_e32 v7, s20, v7
	s_and_not1_b32 exec_lo, exec_lo, s23
	s_cbranch_execnz .LBB35_3
; %bb.4:                                ;   in Loop: Header=BB35_2 Depth=1
	s_or_b32 exec_lo, exec_lo, s23
	v_dual_add_nc_u32 v5, s3, v5 :: v_dual_add_nc_u32 v4, s21, v4
	v_add_nc_u32_e32 v3, s22, v3
	s_delay_alu instid0(VALU_DEP_2) | instskip(SKIP_1) | instid1(SALU_CYCLE_1)
	v_cmp_le_i32_e32 vcc_lo, s14, v5
	s_or_b32 s11, vcc_lo, s11
	s_and_not1_b32 exec_lo, exec_lo, s11
	s_cbranch_execnz .LBB35_2
.LBB35_5:
	s_or_b32 exec_lo, exec_lo, s15
	s_cmp_lt_i32 s14, 2
	s_wait_dscnt 0x0
	s_barrier_signal -1
	s_barrier_wait -1
	s_cbranch_scc1 .LBB35_30
; %bb.6:
	s_wait_xcnt 0x0
	s_load_b64 s[0:1], s[0:1], 0x18
	v_dual_add_nc_u32 v3, 8, v2 :: v_dual_add_nc_u32 v14, 0, v2
	s_wait_kmcnt 0x0
	s_mul_u64 s[18:19], s[6:7], s[18:19]
	s_lshl_b32 s11, s14, 3
	s_lshl_b64 s[18:19], s[18:19], 3
	v_mul_lo_u32 v4, s14, v3
	v_mov_b32_e32 v3, 0
	s_add_co_i32 s33, s11, 0
	s_add_nc_u64 s[4:5], s[4:5], s[18:19]
	s_mov_b32 s7, 0
	s_mov_b32 s15, 1
	s_delay_alu instid0(VALU_DEP_2)
	v_add3_u32 v12, v4, v2, 0
	s_ashr_i32 s19, s0, 31
	s_mov_b32 s18, s0
	s_cmp_lg_u32 s12, 0xb5
	v_mul_lo_u32 v13, v0, s1
	s_cselect_b32 s12, -1, 0
	s_lshl_b64 s[24:25], s[18:19], 3
	s_mov_b32 s22, s1
	v_add_nc_u64_e32 v[4:5], s[24:25], v[2:3]
	s_ashr_i32 s23, s1, 31
	s_add_nc_u64 s[26:27], s[16:17], s[24:25]
	s_add_co_i32 s38, s11, 8
	s_add_co_i32 s36, s13, -2
	s_lshl_b32 s18, s1, 1
	s_lshl_b32 s6, s3, 3
	s_add_nc_u64 s[20:21], s[24:25], 8
	s_lshl_b64 s[22:23], s[22:23], 3
	s_add_nc_u64 s[24:25], s[26:27], 16
	s_mul_i32 s37, s1, s3
	s_mul_i32 s38, s38, s3
	s_mov_b32 s26, s1
	s_branch .LBB35_8
.LBB35_7:                               ;   in Loop: Header=BB35_8 Depth=1
	s_or_b32 exec_lo, exec_lo, s0
	s_add_co_i32 s15, s15, 1
	s_add_co_i32 s36, s36, -1
	s_add_co_i32 s18, s18, s1
	s_add_co_i32 s26, s26, s1
	s_add_nc_u64 s[20:21], s[20:21], 8
	s_cmp_eq_u32 s15, s14
	s_add_nc_u64 s[24:25], s[24:25], 8
	s_wait_dscnt 0x0
	s_barrier_signal -1
	s_barrier_wait -1
	s_cbranch_scc1 .LBB35_30
.LBB35_8:                               ; =>This Loop Header: Depth=1
                                        ;     Child Loop BB35_12 Depth 2
                                        ;       Child Loop BB35_14 Depth 3
                                        ;     Child Loop BB35_21 Depth 2
                                        ;       Child Loop BB35_23 Depth 3
	;; [unrolled: 2-line block ×3, first 2 shown]
	s_mul_i32 s0, s15, s14
	s_not_b32 s19, s15
	s_lshl_b32 s0, s0, 3
	s_add_co_i32 s40, s13, s19
	s_add_co_i32 s39, s33, s0
	v_cmp_gt_u32_e64 s0, s15, v0
	s_and_b32 vcc_lo, exec_lo, s12
	s_mov_b32 s19, -1
	s_cbranch_vccz .LBB35_16
; %bb.9:                                ;   in Loop: Header=BB35_8 Depth=1
	s_and_saveexec_b32 s27, s0
	s_cbranch_execz .LBB35_15
; %bb.10:                               ;   in Loop: Header=BB35_8 Depth=1
	s_load_b64 s[28:29], s[4:5], s15 offset:0x0 scale_offset
	s_ashr_i32 s19, s18, 31
	v_mov_b64_e32 v[6:7], v[4:5]
	s_lshl_b64 s[30:31], s[18:19], 3
	v_mov_b32_e32 v10, v0
	s_cmp_gt_i32 s40, 0
	s_add_nc_u64 s[30:31], s[16:17], s[30:31]
	s_cselect_b32 s0, -1, 0
	s_mov_b32 s19, 0
	s_branch .LBB35_12
.LBB35_11:                              ;   in Loop: Header=BB35_12 Depth=2
	v_dual_lshlrev_b32 v11, 3, v10 :: v_dual_add_nc_u32 v10, s3, v10
	v_add_nc_u64_e32 v[6:7], s[6:7], v[6:7]
	s_delay_alu instid0(VALU_DEP_2) | instskip(NEXT) | instid1(VALU_DEP_3)
	v_add_nc_u32_e32 v15, s39, v11
	v_cmp_le_u32_e32 vcc_lo, s15, v10
	s_wait_xcnt 0x0
	ds_load_b64 v[16:17], v15
	s_or_b32 s19, vcc_lo, s19
	s_wait_dscnt 0x0
	s_wait_kmcnt 0x0
	v_fmac_f64_e32 v[16:17], s[28:29], v[8:9]
	v_add_nc_u32_e32 v8, 0, v11
	ds_store_b64 v8, v[16:17]
	s_and_not1_b32 exec_lo, exec_lo, s19
	s_cbranch_execz .LBB35_15
.LBB35_12:                              ;   Parent Loop BB35_8 Depth=1
                                        ; =>  This Loop Header: Depth=2
                                        ;       Child Loop BB35_14 Depth 3
	v_mov_b64_e32 v[8:9], 0
	s_and_not1_b32 vcc_lo, exec_lo, s0
	s_cbranch_vccnz .LBB35_11
; %bb.13:                               ;   in Loop: Header=BB35_12 Depth=2
	s_mov_b32 s41, 0
	s_mov_b64 s[34:35], s[30:31]
.LBB35_14:                              ;   Parent Loop BB35_8 Depth=1
                                        ;     Parent Loop BB35_12 Depth=2
                                        ; =>    This Inner Loop Header: Depth=3
	s_wait_xcnt 0x0
	v_add_nc_u64_e32 v[16:17], s[34:35], v[6:7]
	s_add_nc_u64 s[42:43], s[34:35], s[20:21]
	s_add_co_i32 s41, s41, 1
	s_add_nc_u64 s[34:35], s[34:35], s[22:23]
	s_cmp_eq_u32 s36, s41
	s_clause 0x1
	flat_load_b64 v[18:19], v[16:17]
	flat_load_b64 v[20:21], v3, s[42:43]
	s_wait_loadcnt_dscnt 0x0
	v_fmac_f64_e32 v[8:9], v[18:19], v[20:21]
	s_cbranch_scc0 .LBB35_14
	s_branch .LBB35_11
.LBB35_15:                              ;   in Loop: Header=BB35_8 Depth=1
	s_or_b32 exec_lo, exec_lo, s27
	s_mov_b32 s19, 0
.LBB35_16:                              ;   in Loop: Header=BB35_8 Depth=1
	s_delay_alu instid0(SALU_CYCLE_1)
	s_and_not1_b32 vcc_lo, exec_lo, s19
	s_cbranch_vccnz .LBB35_25
; %bb.17:                               ;   in Loop: Header=BB35_8 Depth=1
	s_mov_b32 s0, exec_lo
	v_cmpx_gt_u32_e64 s15, v0
	s_cbranch_execz .LBB35_24
; %bb.18:                               ;   in Loop: Header=BB35_8 Depth=1
	s_load_b64 s[28:29], s[4:5], s15 offset:0x0 scale_offset
	s_ashr_i32 s27, s26, 31
	v_dual_mov_b32 v6, v13 :: v_dual_mov_b32 v15, v0
	s_lshl_b64 s[30:31], s[26:27], 3
	s_cmp_gt_i32 s40, 0
	s_add_nc_u64 s[30:31], s[24:25], s[30:31]
	s_cselect_b32 s19, -1, 0
	s_mov_b32 s27, 0
	s_branch .LBB35_21
.LBB35_19:                              ;   in Loop: Header=BB35_21 Depth=2
	v_mov_b64_e32 v[8:9], 0
.LBB35_20:                              ;   in Loop: Header=BB35_21 Depth=2
	v_dual_lshlrev_b32 v7, 3, v15 :: v_dual_add_nc_u32 v15, s3, v15
	s_delay_alu instid0(VALU_DEP_1) | instskip(SKIP_1) | instid1(VALU_DEP_3)
	v_dual_add_nc_u32 v6, s37, v6 :: v_dual_add_nc_u32 v10, s39, v7
	v_add_nc_u32_e32 v7, 0, v7
	v_cmp_le_u32_e32 vcc_lo, s15, v15
	ds_load_b64 v[10:11], v10
	s_or_b32 s27, vcc_lo, s27
	s_wait_dscnt 0x0
	s_wait_kmcnt 0x0
	v_fmac_f64_e32 v[10:11], s[28:29], v[8:9]
	ds_store_b64 v7, v[10:11]
	s_and_not1_b32 exec_lo, exec_lo, s27
	s_cbranch_execz .LBB35_24
.LBB35_21:                              ;   Parent Loop BB35_8 Depth=1
                                        ; =>  This Loop Header: Depth=2
                                        ;       Child Loop BB35_23 Depth 3
	s_and_not1_b32 vcc_lo, exec_lo, s19
	s_cbranch_vccnz .LBB35_19
; %bb.22:                               ;   in Loop: Header=BB35_21 Depth=2
	v_ashrrev_i32_e32 v7, 31, v6
	v_mov_b64_e32 v[8:9], 0
	s_mov_b32 s40, 0
	s_mov_b64 s[34:35], s[30:31]
	s_delay_alu instid0(VALU_DEP_2)
	v_lshl_add_u64 v[10:11], v[6:7], 3, s[24:25]
.LBB35_23:                              ;   Parent Loop BB35_8 Depth=1
                                        ;     Parent Loop BB35_21 Depth=2
                                        ; =>    This Inner Loop Header: Depth=3
	flat_load_b64 v[16:17], v[10:11]
	flat_load_b64 v[18:19], v3, s[34:35]
	s_wait_xcnt 0x1
	v_add_nc_u64_e32 v[10:11], 8, v[10:11]
	s_add_co_i32 s40, s40, 1
	s_wait_xcnt 0x0
	s_add_nc_u64 s[34:35], s[34:35], 8
	s_cmp_eq_u32 s36, s40
	s_wait_loadcnt_dscnt 0x0
	v_fmac_f64_e32 v[8:9], v[16:17], v[18:19]
	s_cbranch_scc0 .LBB35_23
	s_branch .LBB35_20
.LBB35_24:                              ;   in Loop: Header=BB35_8 Depth=1
	s_or_b32 exec_lo, exec_lo, s0
.LBB35_25:                              ;   in Loop: Header=BB35_8 Depth=1
	s_delay_alu instid0(SALU_CYCLE_1)
	s_mov_b32 s0, exec_lo
	s_wait_dscnt 0x0
	s_barrier_signal -1
	s_barrier_wait -1
	v_cmpx_gt_u32_e64 s15, v0
	s_cbranch_execz .LBB35_7
; %bb.26:                               ;   in Loop: Header=BB35_8 Depth=1
	v_dual_mov_b32 v8, v14 :: v_dual_mov_b32 v9, v12
	v_mov_b32_e32 v10, v0
	s_mov_b32 s19, 0
.LBB35_27:                              ;   Parent Loop BB35_8 Depth=1
                                        ; =>  This Loop Header: Depth=2
                                        ;       Child Loop BB35_28 Depth 3
	v_mov_b64_e32 v[6:7], 0
	s_delay_alu instid0(VALU_DEP_3) | instskip(NEXT) | instid1(VALU_DEP_3)
	v_dual_mov_b32 v11, v8 :: v_dual_mov_b32 v15, v9
	v_mov_b32_e32 v16, v10
	s_mov_b32 s27, 0
.LBB35_28:                              ;   Parent Loop BB35_8 Depth=1
                                        ;     Parent Loop BB35_27 Depth=2
                                        ; =>    This Inner Loop Header: Depth=3
	ds_load_b64 v[18:19], v15
	ds_load_b64 v[20:21], v11
	v_dual_add_nc_u32 v16, 1, v16 :: v_dual_add_nc_u32 v15, s11, v15
	v_add_nc_u32_e32 v11, 8, v11
	s_delay_alu instid0(VALU_DEP_2)
	v_cmp_le_u32_e32 vcc_lo, s15, v16
	s_or_b32 s27, vcc_lo, s27
	s_wait_dscnt 0x0
	v_fmac_f64_e32 v[6:7], v[18:19], v[20:21]
	s_and_not1_b32 exec_lo, exec_lo, s27
	s_cbranch_execnz .LBB35_28
; %bb.29:                               ;   in Loop: Header=BB35_27 Depth=2
	s_or_b32 exec_lo, exec_lo, s27
	v_lshl_add_u32 v11, v10, 3, s39
	v_dual_add_nc_u32 v10, s3, v10 :: v_dual_add_nc_u32 v9, s38, v9
	v_add_nc_u32_e32 v8, s6, v8
	ds_store_b64 v11, v[6:7]
	v_cmp_le_u32_e32 vcc_lo, s15, v10
	s_or_b32 s19, vcc_lo, s19
	s_delay_alu instid0(SALU_CYCLE_1)
	s_and_not1_b32 exec_lo, exec_lo, s19
	s_cbranch_execnz .LBB35_27
	s_branch .LBB35_7
.LBB35_30:
	s_wait_xcnt 0x0
	s_and_saveexec_b32 s0, s2
	s_cbranch_execz .LBB35_35
; %bb.31:
	v_add_nc_u32_e32 v3, 8, v2
	s_lshl_b32 s1, s14, 3
	s_add_co_i32 s0, s10, 1
	s_wait_kmcnt 0x0
	s_add_co_i32 s4, s1, 8
	s_mul_i32 s0, s0, s3
	v_mul_lo_u32 v3, s14, v3
	s_mov_b32 s2, 0
	s_mul_i32 s4, s4, s3
	s_delay_alu instid0(VALU_DEP_1)
	v_add3_u32 v2, v3, v2, 0
.LBB35_32:                              ; =>This Loop Header: Depth=1
                                        ;     Child Loop BB35_33 Depth 2
	s_delay_alu instid0(VALU_DEP_1)
	v_dual_mov_b32 v3, v2 :: v_dual_mov_b32 v4, v1
	v_mov_b32_e32 v5, v0
	s_mov_b32 s5, 0
.LBB35_33:                              ;   Parent Loop BB35_32 Depth=1
                                        ; =>  This Inner Loop Header: Depth=2
	ds_load_b64 v[6:7], v3
	v_dual_add_nc_u32 v5, 1, v5 :: v_dual_add_nc_u32 v3, s1, v3
	s_delay_alu instid0(VALU_DEP_1)
	v_cmp_le_i32_e32 vcc_lo, s14, v5
	s_or_b32 s5, vcc_lo, s5
	s_wait_dscnt 0x0
	global_store_b64 v4, v[6:7], s[8:9] scale_offset
	s_wait_xcnt 0x0
	v_add_nc_u32_e32 v4, s10, v4
	s_and_not1_b32 exec_lo, exec_lo, s5
	s_cbranch_execnz .LBB35_33
; %bb.34:                               ;   in Loop: Header=BB35_32 Depth=1
	s_or_b32 exec_lo, exec_lo, s5
	v_dual_add_nc_u32 v0, s3, v0 :: v_dual_add_nc_u32 v1, s0, v1
	v_add_nc_u32_e32 v2, s4, v2
	s_delay_alu instid0(VALU_DEP_2) | instskip(SKIP_1) | instid1(SALU_CYCLE_1)
	v_cmp_le_i32_e32 vcc_lo, s14, v0
	s_or_b32 s2, vcc_lo, s2
	s_and_not1_b32 exec_lo, exec_lo, s2
	s_cbranch_execnz .LBB35_32
.LBB35_35:
	s_endpgm
	.section	.rodata,"a",@progbits
	.p2align	6, 0x0
	.amdhsa_kernel _ZN9rocsolver6v33100L20larft_kernel_forwardIdPKPdEEv15rocblas_storev_iiT0_iilPT_lS8_il
		.amdhsa_group_segment_fixed_size 0
		.amdhsa_private_segment_fixed_size 0
		.amdhsa_kernarg_size 336
		.amdhsa_user_sgpr_count 2
		.amdhsa_user_sgpr_dispatch_ptr 0
		.amdhsa_user_sgpr_queue_ptr 0
		.amdhsa_user_sgpr_kernarg_segment_ptr 1
		.amdhsa_user_sgpr_dispatch_id 0
		.amdhsa_user_sgpr_kernarg_preload_length 0
		.amdhsa_user_sgpr_kernarg_preload_offset 0
		.amdhsa_user_sgpr_private_segment_size 0
		.amdhsa_wavefront_size32 1
		.amdhsa_uses_dynamic_stack 0
		.amdhsa_enable_private_segment 0
		.amdhsa_system_sgpr_workgroup_id_x 1
		.amdhsa_system_sgpr_workgroup_id_y 1
		.amdhsa_system_sgpr_workgroup_id_z 0
		.amdhsa_system_sgpr_workgroup_info 0
		.amdhsa_system_vgpr_workitem_id 0
		.amdhsa_next_free_vgpr 22
		.amdhsa_next_free_sgpr 44
		.amdhsa_named_barrier_count 0
		.amdhsa_reserve_vcc 1
		.amdhsa_float_round_mode_32 0
		.amdhsa_float_round_mode_16_64 0
		.amdhsa_float_denorm_mode_32 3
		.amdhsa_float_denorm_mode_16_64 3
		.amdhsa_fp16_overflow 0
		.amdhsa_memory_ordered 1
		.amdhsa_forward_progress 1
		.amdhsa_inst_pref_size 12
		.amdhsa_round_robin_scheduling 0
		.amdhsa_exception_fp_ieee_invalid_op 0
		.amdhsa_exception_fp_denorm_src 0
		.amdhsa_exception_fp_ieee_div_zero 0
		.amdhsa_exception_fp_ieee_overflow 0
		.amdhsa_exception_fp_ieee_underflow 0
		.amdhsa_exception_fp_ieee_inexact 0
		.amdhsa_exception_int_div_zero 0
	.end_amdhsa_kernel
	.section	.text._ZN9rocsolver6v33100L20larft_kernel_forwardIdPKPdEEv15rocblas_storev_iiT0_iilPT_lS8_il,"axG",@progbits,_ZN9rocsolver6v33100L20larft_kernel_forwardIdPKPdEEv15rocblas_storev_iiT0_iilPT_lS8_il,comdat
.Lfunc_end35:
	.size	_ZN9rocsolver6v33100L20larft_kernel_forwardIdPKPdEEv15rocblas_storev_iiT0_iilPT_lS8_il, .Lfunc_end35-_ZN9rocsolver6v33100L20larft_kernel_forwardIdPKPdEEv15rocblas_storev_iiT0_iilPT_lS8_il
                                        ; -- End function
	.set _ZN9rocsolver6v33100L20larft_kernel_forwardIdPKPdEEv15rocblas_storev_iiT0_iilPT_lS8_il.num_vgpr, 22
	.set _ZN9rocsolver6v33100L20larft_kernel_forwardIdPKPdEEv15rocblas_storev_iiT0_iilPT_lS8_il.num_agpr, 0
	.set _ZN9rocsolver6v33100L20larft_kernel_forwardIdPKPdEEv15rocblas_storev_iiT0_iilPT_lS8_il.numbered_sgpr, 44
	.set _ZN9rocsolver6v33100L20larft_kernel_forwardIdPKPdEEv15rocblas_storev_iiT0_iilPT_lS8_il.num_named_barrier, 0
	.set _ZN9rocsolver6v33100L20larft_kernel_forwardIdPKPdEEv15rocblas_storev_iiT0_iilPT_lS8_il.private_seg_size, 0
	.set _ZN9rocsolver6v33100L20larft_kernel_forwardIdPKPdEEv15rocblas_storev_iiT0_iilPT_lS8_il.uses_vcc, 1
	.set _ZN9rocsolver6v33100L20larft_kernel_forwardIdPKPdEEv15rocblas_storev_iiT0_iilPT_lS8_il.uses_flat_scratch, 1
	.set _ZN9rocsolver6v33100L20larft_kernel_forwardIdPKPdEEv15rocblas_storev_iiT0_iilPT_lS8_il.has_dyn_sized_stack, 0
	.set _ZN9rocsolver6v33100L20larft_kernel_forwardIdPKPdEEv15rocblas_storev_iiT0_iilPT_lS8_il.has_recursion, 0
	.set _ZN9rocsolver6v33100L20larft_kernel_forwardIdPKPdEEv15rocblas_storev_iiT0_iilPT_lS8_il.has_indirect_call, 0
	.section	.AMDGPU.csdata,"",@progbits
; Kernel info:
; codeLenInByte = 1520
; TotalNumSgprs: 46
; NumVgprs: 22
; ScratchSize: 0
; MemoryBound: 0
; FloatMode: 240
; IeeeMode: 1
; LDSByteSize: 0 bytes/workgroup (compile time only)
; SGPRBlocks: 0
; VGPRBlocks: 1
; NumSGPRsForWavesPerEU: 46
; NumVGPRsForWavesPerEU: 22
; NamedBarCnt: 0
; Occupancy: 16
; WaveLimiterHint : 0
; COMPUTE_PGM_RSRC2:SCRATCH_EN: 0
; COMPUTE_PGM_RSRC2:USER_SGPR: 2
; COMPUTE_PGM_RSRC2:TRAP_HANDLER: 0
; COMPUTE_PGM_RSRC2:TGID_X_EN: 1
; COMPUTE_PGM_RSRC2:TGID_Y_EN: 1
; COMPUTE_PGM_RSRC2:TGID_Z_EN: 0
; COMPUTE_PGM_RSRC2:TIDIG_COMP_CNT: 0
	.section	.text._ZN9rocsolver6v33100L13conj_in_placeIdiPKPdTnNSt9enable_ifIXnt18rocblas_is_complexIT_EEiE4typeELi0EEEvT0_S9_T1_lS9_l,"axG",@progbits,_ZN9rocsolver6v33100L13conj_in_placeIdiPKPdTnNSt9enable_ifIXnt18rocblas_is_complexIT_EEiE4typeELi0EEEvT0_S9_T1_lS9_l,comdat
	.globl	_ZN9rocsolver6v33100L13conj_in_placeIdiPKPdTnNSt9enable_ifIXnt18rocblas_is_complexIT_EEiE4typeELi0EEEvT0_S9_T1_lS9_l ; -- Begin function _ZN9rocsolver6v33100L13conj_in_placeIdiPKPdTnNSt9enable_ifIXnt18rocblas_is_complexIT_EEiE4typeELi0EEEvT0_S9_T1_lS9_l
	.p2align	8
	.type	_ZN9rocsolver6v33100L13conj_in_placeIdiPKPdTnNSt9enable_ifIXnt18rocblas_is_complexIT_EEiE4typeELi0EEEvT0_S9_T1_lS9_l,@function
_ZN9rocsolver6v33100L13conj_in_placeIdiPKPdTnNSt9enable_ifIXnt18rocblas_is_complexIT_EEiE4typeELi0EEEvT0_S9_T1_lS9_l: ; @_ZN9rocsolver6v33100L13conj_in_placeIdiPKPdTnNSt9enable_ifIXnt18rocblas_is_complexIT_EEiE4typeELi0EEEvT0_S9_T1_lS9_l
; %bb.0:
	s_endpgm
	.section	.rodata,"a",@progbits
	.p2align	6, 0x0
	.amdhsa_kernel _ZN9rocsolver6v33100L13conj_in_placeIdiPKPdTnNSt9enable_ifIXnt18rocblas_is_complexIT_EEiE4typeELi0EEEvT0_S9_T1_lS9_l
		.amdhsa_group_segment_fixed_size 0
		.amdhsa_private_segment_fixed_size 0
		.amdhsa_kernarg_size 40
		.amdhsa_user_sgpr_count 2
		.amdhsa_user_sgpr_dispatch_ptr 0
		.amdhsa_user_sgpr_queue_ptr 0
		.amdhsa_user_sgpr_kernarg_segment_ptr 1
		.amdhsa_user_sgpr_dispatch_id 0
		.amdhsa_user_sgpr_kernarg_preload_length 0
		.amdhsa_user_sgpr_kernarg_preload_offset 0
		.amdhsa_user_sgpr_private_segment_size 0
		.amdhsa_wavefront_size32 1
		.amdhsa_uses_dynamic_stack 0
		.amdhsa_enable_private_segment 0
		.amdhsa_system_sgpr_workgroup_id_x 1
		.amdhsa_system_sgpr_workgroup_id_y 0
		.amdhsa_system_sgpr_workgroup_id_z 0
		.amdhsa_system_sgpr_workgroup_info 0
		.amdhsa_system_vgpr_workitem_id 0
		.amdhsa_next_free_vgpr 1
		.amdhsa_next_free_sgpr 1
		.amdhsa_named_barrier_count 0
		.amdhsa_reserve_vcc 0
		.amdhsa_float_round_mode_32 0
		.amdhsa_float_round_mode_16_64 0
		.amdhsa_float_denorm_mode_32 3
		.amdhsa_float_denorm_mode_16_64 3
		.amdhsa_fp16_overflow 0
		.amdhsa_memory_ordered 1
		.amdhsa_forward_progress 1
		.amdhsa_inst_pref_size 1
		.amdhsa_round_robin_scheduling 0
		.amdhsa_exception_fp_ieee_invalid_op 0
		.amdhsa_exception_fp_denorm_src 0
		.amdhsa_exception_fp_ieee_div_zero 0
		.amdhsa_exception_fp_ieee_overflow 0
		.amdhsa_exception_fp_ieee_underflow 0
		.amdhsa_exception_fp_ieee_inexact 0
		.amdhsa_exception_int_div_zero 0
	.end_amdhsa_kernel
	.section	.text._ZN9rocsolver6v33100L13conj_in_placeIdiPKPdTnNSt9enable_ifIXnt18rocblas_is_complexIT_EEiE4typeELi0EEEvT0_S9_T1_lS9_l,"axG",@progbits,_ZN9rocsolver6v33100L13conj_in_placeIdiPKPdTnNSt9enable_ifIXnt18rocblas_is_complexIT_EEiE4typeELi0EEEvT0_S9_T1_lS9_l,comdat
.Lfunc_end36:
	.size	_ZN9rocsolver6v33100L13conj_in_placeIdiPKPdTnNSt9enable_ifIXnt18rocblas_is_complexIT_EEiE4typeELi0EEEvT0_S9_T1_lS9_l, .Lfunc_end36-_ZN9rocsolver6v33100L13conj_in_placeIdiPKPdTnNSt9enable_ifIXnt18rocblas_is_complexIT_EEiE4typeELi0EEEvT0_S9_T1_lS9_l
                                        ; -- End function
	.set _ZN9rocsolver6v33100L13conj_in_placeIdiPKPdTnNSt9enable_ifIXnt18rocblas_is_complexIT_EEiE4typeELi0EEEvT0_S9_T1_lS9_l.num_vgpr, 0
	.set _ZN9rocsolver6v33100L13conj_in_placeIdiPKPdTnNSt9enable_ifIXnt18rocblas_is_complexIT_EEiE4typeELi0EEEvT0_S9_T1_lS9_l.num_agpr, 0
	.set _ZN9rocsolver6v33100L13conj_in_placeIdiPKPdTnNSt9enable_ifIXnt18rocblas_is_complexIT_EEiE4typeELi0EEEvT0_S9_T1_lS9_l.numbered_sgpr, 0
	.set _ZN9rocsolver6v33100L13conj_in_placeIdiPKPdTnNSt9enable_ifIXnt18rocblas_is_complexIT_EEiE4typeELi0EEEvT0_S9_T1_lS9_l.num_named_barrier, 0
	.set _ZN9rocsolver6v33100L13conj_in_placeIdiPKPdTnNSt9enable_ifIXnt18rocblas_is_complexIT_EEiE4typeELi0EEEvT0_S9_T1_lS9_l.private_seg_size, 0
	.set _ZN9rocsolver6v33100L13conj_in_placeIdiPKPdTnNSt9enable_ifIXnt18rocblas_is_complexIT_EEiE4typeELi0EEEvT0_S9_T1_lS9_l.uses_vcc, 0
	.set _ZN9rocsolver6v33100L13conj_in_placeIdiPKPdTnNSt9enable_ifIXnt18rocblas_is_complexIT_EEiE4typeELi0EEEvT0_S9_T1_lS9_l.uses_flat_scratch, 0
	.set _ZN9rocsolver6v33100L13conj_in_placeIdiPKPdTnNSt9enable_ifIXnt18rocblas_is_complexIT_EEiE4typeELi0EEEvT0_S9_T1_lS9_l.has_dyn_sized_stack, 0
	.set _ZN9rocsolver6v33100L13conj_in_placeIdiPKPdTnNSt9enable_ifIXnt18rocblas_is_complexIT_EEiE4typeELi0EEEvT0_S9_T1_lS9_l.has_recursion, 0
	.set _ZN9rocsolver6v33100L13conj_in_placeIdiPKPdTnNSt9enable_ifIXnt18rocblas_is_complexIT_EEiE4typeELi0EEEvT0_S9_T1_lS9_l.has_indirect_call, 0
	.section	.AMDGPU.csdata,"",@progbits
; Kernel info:
; codeLenInByte = 4
; TotalNumSgprs: 0
; NumVgprs: 0
; ScratchSize: 0
; MemoryBound: 0
; FloatMode: 240
; IeeeMode: 1
; LDSByteSize: 0 bytes/workgroup (compile time only)
; SGPRBlocks: 0
; VGPRBlocks: 0
; NumSGPRsForWavesPerEU: 1
; NumVGPRsForWavesPerEU: 1
; NamedBarCnt: 0
; Occupancy: 16
; WaveLimiterHint : 0
; COMPUTE_PGM_RSRC2:SCRATCH_EN: 0
; COMPUTE_PGM_RSRC2:USER_SGPR: 2
; COMPUTE_PGM_RSRC2:TRAP_HANDLER: 0
; COMPUTE_PGM_RSRC2:TGID_X_EN: 1
; COMPUTE_PGM_RSRC2:TGID_Y_EN: 0
; COMPUTE_PGM_RSRC2:TGID_Z_EN: 0
; COMPUTE_PGM_RSRC2:TIDIG_COMP_CNT: 0
	.section	.text._ZN9rocsolver6v33100L21larft_kernel_backwardIdPKPdEEv15rocblas_storev_iiT0_iilPT_lS8_il,"axG",@progbits,_ZN9rocsolver6v33100L21larft_kernel_backwardIdPKPdEEv15rocblas_storev_iiT0_iilPT_lS8_il,comdat
	.globl	_ZN9rocsolver6v33100L21larft_kernel_backwardIdPKPdEEv15rocblas_storev_iiT0_iilPT_lS8_il ; -- Begin function _ZN9rocsolver6v33100L21larft_kernel_backwardIdPKPdEEv15rocblas_storev_iiT0_iilPT_lS8_il
	.p2align	8
	.type	_ZN9rocsolver6v33100L21larft_kernel_backwardIdPKPdEEv15rocblas_storev_iiT0_iilPT_lS8_il,@function
_ZN9rocsolver6v33100L21larft_kernel_backwardIdPKPdEEv15rocblas_storev_iiT0_iilPT_lS8_il: ; @_ZN9rocsolver6v33100L21larft_kernel_backwardIdPKPdEEv15rocblas_storev_iiT0_iilPT_lS8_il
; %bb.0:
	s_clause 0x1
	s_load_b32 s2, s[0:1], 0x5c
	s_load_b64 s[4:5], s[0:1], 0x10
	s_bfe_u32 s3, ttmp6, 0x40010
	s_bfe_u32 s6, ttmp6, 0x40004
	s_add_co_i32 s3, s3, 1
	s_getreg_b32 s7, hwreg(HW_REG_IB_STS2, 6, 4)
	s_mul_i32 s3, ttmp7, s3
	s_clause 0x1
	s_load_b64 s[18:19], s[0:1], 0x48
	s_load_b96 s[8:10], s[0:1], 0x0
	s_add_co_i32 s6, s6, s3
	v_dual_add_nc_u32 v1, 1, v0 :: v_dual_lshlrev_b32 v2, 3, v0
	s_mov_b32 s11, 0
	s_wait_kmcnt 0x0
	s_and_b32 s3, s2, 0xffff
	s_cmp_eq_u32 s7, 0
	s_cselect_b32 s16, ttmp7, s6
	s_delay_alu instid0(SALU_CYCLE_1) | instskip(NEXT) | instid1(SALU_CYCLE_1)
	s_ashr_i32 s17, s16, 31
	s_lshl_b64 s[6:7], s[16:17], 3
	s_mul_u64 s[18:19], s[18:19], s[16:17]
	s_add_nc_u64 s[22:23], s[4:5], s[6:7]
	s_clause 0x1
	s_load_b96 s[12:14], s[0:1], 0x38
	s_load_b128 s[4:7], s[0:1], 0x28
	s_load_b64 s[20:21], s[22:23], 0x0
	v_cmp_gt_i32_e64 s2, s10, v0
	s_lshl_b64 s[18:19], s[18:19], 3
	s_wait_kmcnt 0x0
	s_add_nc_u64 s[12:13], s[12:13], s[18:19]
	s_and_saveexec_b32 s15, s2
	s_cbranch_execz .LBB37_5
; %bb.1:
	s_lshl_b32 s18, s10, 3
	v_dual_add_nc_u32 v3, 1, v0 :: v_dual_mov_b32 v5, v0
	v_add3_u32 v4, 0, s18, v2
	s_lshl_b32 s19, s3, 3
.LBB37_2:                               ; =>This Loop Header: Depth=1
                                        ;     Child Loop BB37_3 Depth 2
	s_delay_alu instid0(VALU_DEP_1)
	v_dual_mov_b32 v6, v5 :: v_dual_mov_b32 v7, v4
	s_mov_b32 s22, 0
	s_mov_b32 s23, 0
.LBB37_3:                               ;   Parent Loop BB37_2 Depth=1
                                        ; =>  This Inner Loop Header: Depth=2
	global_load_b64 v[8:9], v6, s[12:13] scale_offset
	s_add_co_i32 s23, s23, 1
	s_wait_xcnt 0x0
	v_add_nc_u32_e32 v6, s14, v6
	v_cmp_eq_u32_e32 vcc_lo, s23, v3
	s_or_b32 s22, vcc_lo, s22
	s_wait_loadcnt 0x0
	ds_store_b64 v7, v[8:9]
	v_add_nc_u32_e32 v7, s18, v7
	s_and_not1_b32 exec_lo, exec_lo, s22
	s_cbranch_execnz .LBB37_3
; %bb.4:                                ;   in Loop: Header=BB37_2 Depth=1
	s_or_b32 exec_lo, exec_lo, s22
	v_dual_add_nc_u32 v5, s3, v5 :: v_dual_add_nc_u32 v3, s3, v3
	v_add_nc_u32_e32 v4, s19, v4
	s_delay_alu instid0(VALU_DEP_2) | instskip(SKIP_1) | instid1(SALU_CYCLE_1)
	v_cmp_le_i32_e32 vcc_lo, s10, v5
	s_or_b32 s11, vcc_lo, s11
	s_and_not1_b32 exec_lo, exec_lo, s11
	s_cbranch_execnz .LBB37_2
.LBB37_5:
	s_or_b32 exec_lo, exec_lo, s15
	s_cmp_lt_i32 s10, 2
	s_wait_dscnt 0x0
	s_barrier_signal -1
	s_barrier_wait -1
	s_cbranch_scc1 .LBB37_30
; %bb.6:
	s_load_b64 s[0:1], s[0:1], 0x18
	s_mul_u64 s[16:17], s[6:7], s[16:17]
	s_lshl_b32 s11, s10, 3
	s_lshl_b64 s[18:19], s[16:17], 3
	s_add_co_i32 s6, s10, -2
	s_sub_co_i32 s15, s9, s10
	s_add_co_i32 s33, s11, 0
	s_add_nc_u64 s[4:5], s[4:5], s[18:19]
	s_mov_b32 s7, 0
	v_mov_b32_e32 v3, 0
	s_mov_b32 s17, s7
	s_wait_kmcnt 0x0
	s_ashr_i32 s19, s0, 31
	s_cmp_lg_u32 s8, 0xb5
	s_mov_b32 s18, s0
	s_cselect_b32 s36, -1, 0
	s_add_co_i32 s37, s9, -2
	s_lshl_b64 s[8:9], s[6:7], 3
	s_lshl_b64 s[18:19], s[18:19], 3
	s_add_nc_u64 s[24:25], s[20:21], s[8:9]
	v_mul_lo_u32 v12, v0, s1
	s_add_nc_u64 s[24:25], s[24:25], s[18:19]
	s_add_co_i32 s7, s11, 8
	v_add_nc_u64_e32 v[4:5], s[24:25], v[2:3]
	s_mul_i32 s7, s10, s7
	s_mov_b32 s22, s1
	s_add_co_i32 s7, s7, 0
	s_ashr_i32 s23, s1, 31
	v_add3_u32 v13, s7, v2, -8
	s_add_co_i32 s0, s10, -1
	v_add_nc_u64_e32 v[4:5], 8, v[4:5]
	s_add_nc_u64 s[24:25], s[18:19], s[8:9]
	s_lshl_b32 s16, s3, 3
	s_lshl_b64 s[8:9], s[22:23], 3
	s_add_nc_u64 s[18:19], s[20:21], s[18:19]
	s_add_nc_u64 s[20:21], s[20:21], s[24:25]
	s_mul_i32 s22, s1, s0
	s_mul_i32 s7, s1, s3
	;; [unrolled: 1-line block ×3, first 2 shown]
	s_xor_b32 s38, s11, -8
	s_branch .LBB37_8
.LBB37_7:                               ;   in Loop: Header=BB37_8 Depth=1
	s_or_b32 exec_lo, exec_lo, s0
	v_add_nc_u64_e32 v[4:5], -8, v[4:5]
	v_add_nc_u32_e32 v13, s38, v13
	s_add_co_i32 s0, s6, -1
	s_add_co_i32 s37, s37, -1
	s_sub_co_i32 s22, s22, s1
	s_sub_co_i32 s24, s24, s1
	s_add_nc_u64 s[20:21], s[20:21], -8
	s_cmp_lt_i32 s6, 1
	s_mov_b32 s6, s0
	s_wait_dscnt 0x0
	s_barrier_signal -1
	s_barrier_wait -1
	s_cbranch_scc1 .LBB37_30
.LBB37_8:                               ; =>This Loop Header: Depth=1
                                        ;     Child Loop BB37_12 Depth 2
                                        ;       Child Loop BB37_14 Depth 3
                                        ;     Child Loop BB37_21 Depth 2
                                        ;       Child Loop BB37_23 Depth 3
	;; [unrolled: 2-line block ×3, first 2 shown]
	s_not_b32 s0, s6
	s_lshl_b32 s23, s6, 3
	s_add_co_i32 s39, s10, s0
	s_mul_i32 s0, s6, s10
	s_add_co_i32 s40, s33, s23
	s_lshl_b32 s0, s0, 3
	s_add_co_i32 s30, s6, s15
	s_add_co_i32 s40, s40, s0
	v_cmp_gt_i32_e64 s0, s39, v0
	s_and_b32 vcc_lo, exec_lo, s36
	s_mov_b32 s23, -1
	s_cbranch_vccz .LBB37_16
; %bb.9:                                ;   in Loop: Header=BB37_8 Depth=1
	s_and_saveexec_b32 s23, s0
	s_cbranch_execz .LBB37_15
; %bb.10:                               ;   in Loop: Header=BB37_8 Depth=1
	s_load_b64 s[26:27], s[4:5], s6 offset:0x0 scale_offset
	v_mov_b64_e32 v[6:7], v[4:5]
	v_mov_b32_e32 v10, v0
	s_cmp_gt_i32 s30, 0
	s_mov_b32 s25, 0
	s_cselect_b32 s0, -1, 0
	s_branch .LBB37_12
.LBB37_11:                              ;   in Loop: Header=BB37_12 Depth=2
	v_dual_lshlrev_b32 v11, 3, v10 :: v_dual_add_nc_u32 v10, s3, v10
	v_add_nc_u64_e32 v[6:7], s[16:17], v[6:7]
	s_wait_xcnt 0x0
	s_delay_alu instid0(VALU_DEP_2) | instskip(NEXT) | instid1(VALU_DEP_3)
	v_add_nc_u32_e32 v14, s40, v11
	v_cmp_le_i32_e32 vcc_lo, s39, v10
	ds_load_b64 v[14:15], v14 offset:8
	s_or_b32 s25, vcc_lo, s25
	s_wait_dscnt 0x0
	s_wait_kmcnt 0x0
	v_fmac_f64_e32 v[14:15], s[26:27], v[8:9]
	v_add_nc_u32_e32 v8, 0, v11
	ds_store_b64 v8, v[14:15]
	s_and_not1_b32 exec_lo, exec_lo, s25
	s_cbranch_execz .LBB37_15
.LBB37_12:                              ;   Parent Loop BB37_8 Depth=1
                                        ; =>  This Loop Header: Depth=2
                                        ;       Child Loop BB37_14 Depth 3
	v_mov_b64_e32 v[8:9], 0
	s_and_not1_b32 vcc_lo, exec_lo, s0
	s_cbranch_vccnz .LBB37_11
; %bb.13:                               ;   in Loop: Header=BB37_12 Depth=2
	s_mov_b32 s31, 0
	s_mov_b64 s[28:29], 0
.LBB37_14:                              ;   Parent Loop BB37_8 Depth=1
                                        ;     Parent Loop BB37_12 Depth=2
                                        ; =>    This Inner Loop Header: Depth=3
	s_wait_xcnt 0x0
	v_add_nc_u64_e32 v[14:15], s[28:29], v[6:7]
	s_add_nc_u64 s[34:35], s[20:21], s[28:29]
	s_add_co_i32 s31, s31, 1
	s_add_nc_u64 s[28:29], s[28:29], s[8:9]
	s_cmp_eq_u32 s37, s31
	flat_load_b64 v[16:17], v3, s[34:35]
	flat_load_b64 v[18:19], v[14:15]
	s_wait_loadcnt_dscnt 0x0
	v_fmac_f64_e32 v[8:9], v[18:19], v[16:17]
	s_cbranch_scc0 .LBB37_14
	s_branch .LBB37_11
.LBB37_15:                              ;   in Loop: Header=BB37_8 Depth=1
	s_or_b32 exec_lo, exec_lo, s23
	s_mov_b32 s23, 0
.LBB37_16:                              ;   in Loop: Header=BB37_8 Depth=1
	s_delay_alu instid0(SALU_CYCLE_1)
	s_and_not1_b32 vcc_lo, exec_lo, s23
	s_cbranch_vccnz .LBB37_25
; %bb.17:                               ;   in Loop: Header=BB37_8 Depth=1
	s_mov_b32 s0, exec_lo
	v_cmpx_gt_i32_e64 s39, v0
	s_cbranch_execz .LBB37_24
; %bb.18:                               ;   in Loop: Header=BB37_8 Depth=1
	s_load_b64 s[26:27], s[4:5], s6 offset:0x0 scale_offset
	s_ashr_i32 s23, s22, 31
	s_ashr_i32 s25, s24, 31
	s_lshl_b64 s[34:35], s[22:23], 3
	s_lshl_b64 s[28:29], s[24:25], 3
	v_dual_mov_b32 v6, v12 :: v_dual_mov_b32 v14, v0
	s_cmp_gt_i32 s30, 0
	s_add_nc_u64 s[28:29], s[18:19], s[28:29]
	s_cselect_b32 s23, -1, 0
	s_mov_b32 s25, 0
	s_add_nc_u64 s[30:31], s[18:19], s[34:35]
	s_branch .LBB37_21
.LBB37_19:                              ;   in Loop: Header=BB37_21 Depth=2
	v_mov_b64_e32 v[8:9], 0
.LBB37_20:                              ;   in Loop: Header=BB37_21 Depth=2
	v_dual_lshlrev_b32 v7, 3, v14 :: v_dual_add_nc_u32 v14, s3, v14
	s_delay_alu instid0(VALU_DEP_1) | instskip(SKIP_1) | instid1(VALU_DEP_3)
	v_dual_add_nc_u32 v6, s7, v6 :: v_dual_add_nc_u32 v10, s40, v7
	v_add_nc_u32_e32 v7, 0, v7
	v_cmp_le_i32_e32 vcc_lo, s39, v14
	ds_load_b64 v[10:11], v10 offset:8
	s_or_b32 s25, vcc_lo, s25
	s_wait_dscnt 0x0
	s_wait_kmcnt 0x0
	v_fmac_f64_e32 v[10:11], s[26:27], v[8:9]
	ds_store_b64 v7, v[10:11]
	s_and_not1_b32 exec_lo, exec_lo, s25
	s_cbranch_execz .LBB37_24
.LBB37_21:                              ;   Parent Loop BB37_8 Depth=1
                                        ; =>  This Loop Header: Depth=2
                                        ;       Child Loop BB37_23 Depth 3
	s_and_not1_b32 vcc_lo, exec_lo, s23
	s_cbranch_vccnz .LBB37_19
; %bb.22:                               ;   in Loop: Header=BB37_21 Depth=2
	v_ashrrev_i32_e32 v7, 31, v6
	v_mov_b64_e32 v[8:9], 0
	s_mov_b32 s41, 0
	s_mov_b64 s[34:35], s[28:29]
	s_delay_alu instid0(VALU_DEP_2)
	v_lshl_add_u64 v[10:11], v[6:7], 3, s[30:31]
.LBB37_23:                              ;   Parent Loop BB37_8 Depth=1
                                        ;     Parent Loop BB37_21 Depth=2
                                        ; =>    This Inner Loop Header: Depth=3
	flat_load_b64 v[16:17], v[10:11]
	flat_load_b64 v[18:19], v3, s[34:35]
	s_wait_xcnt 0x1
	v_add_nc_u64_e32 v[10:11], 8, v[10:11]
	s_add_co_i32 s41, s41, 1
	s_wait_xcnt 0x0
	s_add_nc_u64 s[34:35], s[34:35], 8
	s_cmp_eq_u32 s37, s41
	s_wait_loadcnt_dscnt 0x0
	v_fmac_f64_e32 v[8:9], v[16:17], v[18:19]
	s_cbranch_scc0 .LBB37_23
	s_branch .LBB37_20
.LBB37_24:                              ;   in Loop: Header=BB37_8 Depth=1
	s_or_b32 exec_lo, exec_lo, s0
.LBB37_25:                              ;   in Loop: Header=BB37_8 Depth=1
	s_delay_alu instid0(SALU_CYCLE_1)
	s_mov_b32 s0, exec_lo
	s_wait_dscnt 0x0
	s_barrier_signal -1
	s_barrier_wait -1
	v_cmpx_gt_i32_e64 s39, v0
	s_cbranch_execz .LBB37_7
; %bb.26:                               ;   in Loop: Header=BB37_8 Depth=1
	v_dual_mov_b32 v8, v13 :: v_dual_mov_b32 v9, v0
	s_mov_b32 s23, 0
.LBB37_27:                              ;   Parent Loop BB37_8 Depth=1
                                        ; =>  This Loop Header: Depth=2
                                        ;       Child Loop BB37_28 Depth 3
	v_mov_b64_e32 v[6:7], 0
	s_delay_alu instid0(VALU_DEP_2)
	v_mov_b32_e32 v10, v8
	s_mov_b32 s26, -1
	s_mov_b32 s25, 0
	s_mov_b32 s27, 0
.LBB37_28:                              ;   Parent Loop BB37_8 Depth=1
                                        ;     Parent Loop BB37_27 Depth=2
                                        ; =>    This Inner Loop Header: Depth=3
	s_delay_alu instid0(SALU_CYCLE_1)
	v_mov_b32_e32 v11, s27
	s_add_co_i32 s26, s26, 1
	s_add_co_i32 s27, s27, 8
	v_cmp_eq_u32_e32 vcc_lo, s26, v9
	ds_load_b64 v[14:15], v10
	ds_load_b64 v[16:17], v11
	v_add_nc_u32_e32 v10, s11, v10
	s_or_b32 s25, vcc_lo, s25
	s_wait_dscnt 0x0
	v_fmac_f64_e32 v[6:7], v[14:15], v[16:17]
	s_and_not1_b32 exec_lo, exec_lo, s25
	s_cbranch_execnz .LBB37_28
; %bb.29:                               ;   in Loop: Header=BB37_27 Depth=2
	s_or_b32 exec_lo, exec_lo, s25
	v_lshl_add_u32 v10, v9, 3, s40
	v_dual_add_nc_u32 v9, s3, v9 :: v_dual_add_nc_u32 v8, s16, v8
	ds_store_b64 v10, v[6:7] offset:8
	v_cmp_le_i32_e32 vcc_lo, s39, v9
	s_or_b32 s23, vcc_lo, s23
	s_delay_alu instid0(SALU_CYCLE_1)
	s_and_not1_b32 exec_lo, exec_lo, s23
	s_cbranch_execnz .LBB37_27
	s_branch .LBB37_7
.LBB37_30:
	s_and_saveexec_b32 s0, s2
	s_cbranch_execz .LBB37_35
; %bb.31:
	s_lshl_b32 s0, s10, 3
	s_mov_b32 s1, 0
	v_add3_u32 v2, 0, s0, v2
	s_lshl_b32 s2, s3, 3
.LBB37_32:                              ; =>This Loop Header: Depth=1
                                        ;     Child Loop BB37_33 Depth 2
	s_delay_alu instid0(VALU_DEP_1)
	v_dual_mov_b32 v3, v2 :: v_dual_mov_b32 v4, v0
	s_mov_b32 s4, 0
	s_mov_b32 s5, 0
.LBB37_33:                              ;   Parent Loop BB37_32 Depth=1
                                        ; =>  This Inner Loop Header: Depth=2
	ds_load_b64 v[6:7], v3
	s_add_co_i32 s5, s5, 1
	v_add_nc_u32_e32 v3, s0, v3
	v_cmp_eq_u32_e32 vcc_lo, s5, v1
	s_or_b32 s4, vcc_lo, s4
	s_wait_dscnt 0x0
	global_store_b64 v4, v[6:7], s[12:13] scale_offset
	s_wait_xcnt 0x0
	v_add_nc_u32_e32 v4, s14, v4
	s_and_not1_b32 exec_lo, exec_lo, s4
	s_cbranch_execnz .LBB37_33
; %bb.34:                               ;   in Loop: Header=BB37_32 Depth=1
	s_or_b32 exec_lo, exec_lo, s4
	v_dual_add_nc_u32 v0, s3, v0 :: v_dual_add_nc_u32 v1, s3, v1
	v_add_nc_u32_e32 v2, s2, v2
	s_delay_alu instid0(VALU_DEP_2) | instskip(SKIP_1) | instid1(SALU_CYCLE_1)
	v_cmp_le_i32_e32 vcc_lo, s10, v0
	s_or_b32 s1, vcc_lo, s1
	s_and_not1_b32 exec_lo, exec_lo, s1
	s_cbranch_execnz .LBB37_32
.LBB37_35:
	s_endpgm
	.section	.rodata,"a",@progbits
	.p2align	6, 0x0
	.amdhsa_kernel _ZN9rocsolver6v33100L21larft_kernel_backwardIdPKPdEEv15rocblas_storev_iiT0_iilPT_lS8_il
		.amdhsa_group_segment_fixed_size 0
		.amdhsa_private_segment_fixed_size 0
		.amdhsa_kernarg_size 336
		.amdhsa_user_sgpr_count 2
		.amdhsa_user_sgpr_dispatch_ptr 0
		.amdhsa_user_sgpr_queue_ptr 0
		.amdhsa_user_sgpr_kernarg_segment_ptr 1
		.amdhsa_user_sgpr_dispatch_id 0
		.amdhsa_user_sgpr_kernarg_preload_length 0
		.amdhsa_user_sgpr_kernarg_preload_offset 0
		.amdhsa_user_sgpr_private_segment_size 0
		.amdhsa_wavefront_size32 1
		.amdhsa_uses_dynamic_stack 0
		.amdhsa_enable_private_segment 0
		.amdhsa_system_sgpr_workgroup_id_x 1
		.amdhsa_system_sgpr_workgroup_id_y 1
		.amdhsa_system_sgpr_workgroup_id_z 0
		.amdhsa_system_sgpr_workgroup_info 0
		.amdhsa_system_vgpr_workitem_id 0
		.amdhsa_next_free_vgpr 20
		.amdhsa_next_free_sgpr 42
		.amdhsa_named_barrier_count 0
		.amdhsa_reserve_vcc 1
		.amdhsa_float_round_mode_32 0
		.amdhsa_float_round_mode_16_64 0
		.amdhsa_float_denorm_mode_32 3
		.amdhsa_float_denorm_mode_16_64 3
		.amdhsa_fp16_overflow 0
		.amdhsa_memory_ordered 1
		.amdhsa_forward_progress 1
		.amdhsa_inst_pref_size 12
		.amdhsa_round_robin_scheduling 0
		.amdhsa_exception_fp_ieee_invalid_op 0
		.amdhsa_exception_fp_denorm_src 0
		.amdhsa_exception_fp_ieee_div_zero 0
		.amdhsa_exception_fp_ieee_overflow 0
		.amdhsa_exception_fp_ieee_underflow 0
		.amdhsa_exception_fp_ieee_inexact 0
		.amdhsa_exception_int_div_zero 0
	.end_amdhsa_kernel
	.section	.text._ZN9rocsolver6v33100L21larft_kernel_backwardIdPKPdEEv15rocblas_storev_iiT0_iilPT_lS8_il,"axG",@progbits,_ZN9rocsolver6v33100L21larft_kernel_backwardIdPKPdEEv15rocblas_storev_iiT0_iilPT_lS8_il,comdat
.Lfunc_end37:
	.size	_ZN9rocsolver6v33100L21larft_kernel_backwardIdPKPdEEv15rocblas_storev_iiT0_iilPT_lS8_il, .Lfunc_end37-_ZN9rocsolver6v33100L21larft_kernel_backwardIdPKPdEEv15rocblas_storev_iiT0_iilPT_lS8_il
                                        ; -- End function
	.set _ZN9rocsolver6v33100L21larft_kernel_backwardIdPKPdEEv15rocblas_storev_iiT0_iilPT_lS8_il.num_vgpr, 20
	.set _ZN9rocsolver6v33100L21larft_kernel_backwardIdPKPdEEv15rocblas_storev_iiT0_iilPT_lS8_il.num_agpr, 0
	.set _ZN9rocsolver6v33100L21larft_kernel_backwardIdPKPdEEv15rocblas_storev_iiT0_iilPT_lS8_il.numbered_sgpr, 42
	.set _ZN9rocsolver6v33100L21larft_kernel_backwardIdPKPdEEv15rocblas_storev_iiT0_iilPT_lS8_il.num_named_barrier, 0
	.set _ZN9rocsolver6v33100L21larft_kernel_backwardIdPKPdEEv15rocblas_storev_iiT0_iilPT_lS8_il.private_seg_size, 0
	.set _ZN9rocsolver6v33100L21larft_kernel_backwardIdPKPdEEv15rocblas_storev_iiT0_iilPT_lS8_il.uses_vcc, 1
	.set _ZN9rocsolver6v33100L21larft_kernel_backwardIdPKPdEEv15rocblas_storev_iiT0_iilPT_lS8_il.uses_flat_scratch, 0
	.set _ZN9rocsolver6v33100L21larft_kernel_backwardIdPKPdEEv15rocblas_storev_iiT0_iilPT_lS8_il.has_dyn_sized_stack, 0
	.set _ZN9rocsolver6v33100L21larft_kernel_backwardIdPKPdEEv15rocblas_storev_iiT0_iilPT_lS8_il.has_recursion, 0
	.set _ZN9rocsolver6v33100L21larft_kernel_backwardIdPKPdEEv15rocblas_storev_iiT0_iilPT_lS8_il.has_indirect_call, 0
	.section	.AMDGPU.csdata,"",@progbits
; Kernel info:
; codeLenInByte = 1452
; TotalNumSgprs: 44
; NumVgprs: 20
; ScratchSize: 0
; MemoryBound: 0
; FloatMode: 240
; IeeeMode: 1
; LDSByteSize: 0 bytes/workgroup (compile time only)
; SGPRBlocks: 0
; VGPRBlocks: 1
; NumSGPRsForWavesPerEU: 44
; NumVGPRsForWavesPerEU: 20
; NamedBarCnt: 0
; Occupancy: 16
; WaveLimiterHint : 0
; COMPUTE_PGM_RSRC2:SCRATCH_EN: 0
; COMPUTE_PGM_RSRC2:USER_SGPR: 2
; COMPUTE_PGM_RSRC2:TRAP_HANDLER: 0
; COMPUTE_PGM_RSRC2:TGID_X_EN: 1
; COMPUTE_PGM_RSRC2:TGID_Y_EN: 1
; COMPUTE_PGM_RSRC2:TGID_Z_EN: 0
; COMPUTE_PGM_RSRC2:TIDIG_COMP_CNT: 0
	.section	.text._ZN9rocsolver6v33100L9copymatA1IdPKPdEEviiT0_iilPT_,"axG",@progbits,_ZN9rocsolver6v33100L9copymatA1IdPKPdEEviiT0_iilPT_,comdat
	.globl	_ZN9rocsolver6v33100L9copymatA1IdPKPdEEviiT0_iilPT_ ; -- Begin function _ZN9rocsolver6v33100L9copymatA1IdPKPdEEviiT0_iilPT_
	.p2align	8
	.type	_ZN9rocsolver6v33100L9copymatA1IdPKPdEEviiT0_iilPT_,@function
_ZN9rocsolver6v33100L9copymatA1IdPKPdEEviiT0_iilPT_: ; @_ZN9rocsolver6v33100L9copymatA1IdPKPdEEviiT0_iilPT_
; %bb.0:
	s_clause 0x1
	s_load_b32 s2, s[0:1], 0x34
	s_load_b64 s[4:5], s[0:1], 0x0
	s_bfe_u32 s7, ttmp6, 0x40010
	s_bfe_u32 s10, ttmp6, 0x4000c
	s_and_b32 s3, ttmp7, 0xffff
	s_add_co_i32 s7, s7, 1
	s_add_co_i32 s10, s10, 1
	s_bfe_u32 s8, ttmp6, 0x40004
	s_and_b32 s9, ttmp6, 15
	s_mul_i32 s7, s3, s7
	s_mul_i32 s10, ttmp9, s10
	s_getreg_b32 s6, hwreg(HW_REG_IB_STS2, 6, 4)
	v_and_b32_e32 v1, 0x3ff, v0
	v_bfe_u32 v0, v0, 10, 10
	s_add_co_i32 s8, s8, s7
	s_add_co_i32 s9, s9, s10
	s_wait_kmcnt 0x0
	s_lshr_b32 s7, s2, 16
	s_and_b32 s2, s2, 0xffff
	s_cmp_eq_u32 s6, 0
	s_cselect_b32 s3, s3, s8
	s_cselect_b32 s8, ttmp9, s9
	v_mad_u32 v0, s3, s7, v0
	v_mad_u32 v1, s8, s2, v1
	s_mov_b32 s3, 0
	s_delay_alu instid0(VALU_DEP_2) | instskip(NEXT) | instid1(VALU_DEP_2)
	v_cmp_gt_u32_e32 vcc_lo, s4, v0
	v_cmp_gt_u32_e64 s2, s5, v1
	s_and_b32 s2, s2, vcc_lo
	s_delay_alu instid0(SALU_CYCLE_1)
	s_and_saveexec_b32 s7, s2
	s_cbranch_execz .LBB38_2
; %bb.1:
	s_load_b128 s[8:11], s[0:1], 0x8
	s_bfe_u32 s2, ttmp6, 0x40014
	s_lshr_b32 s12, ttmp7, 16
	s_add_co_i32 s2, s2, 1
	s_bfe_u32 s14, ttmp6, 0x40008
	s_mul_i32 s2, s12, s2
	s_ashr_i32 s7, s4, 31
	s_ashr_i32 s13, s5, 31
	s_add_co_i32 s14, s14, s2
	s_cmp_eq_u32 s6, 0
	s_mov_b32 s6, s4
	s_cselect_b32 s2, s12, s14
	s_mov_b32 s12, s5
	s_load_b64 s[14:15], s[0:1], 0x20
	s_wait_kmcnt 0x0
	s_load_b64 s[16:17], s[8:9], s2 offset:0x0 scale_offset
	v_mad_u32 v2, v1, s11, v0
	s_ashr_i32 s1, s10, 31
	s_mov_b32 s0, s10
	v_mad_u32 v0, v1, s4, v0
	s_lshl_b64 s[0:1], s[0:1], 3
	s_wait_kmcnt 0x0
	s_add_nc_u64 s[0:1], s[16:17], s[0:1]
	flat_load_b64 v[2:3], v2, s[0:1] scale_offset
	s_wait_xcnt 0x0
	s_mul_u64 s[0:1], s[6:7], s[2:3]
	s_delay_alu instid0(SALU_CYCLE_1) | instskip(NEXT) | instid1(SALU_CYCLE_1)
	s_mul_u64 s[0:1], s[0:1], s[12:13]
	s_lshl_b64 s[0:1], s[0:1], 3
	s_delay_alu instid0(SALU_CYCLE_1)
	s_add_nc_u64 s[0:1], s[14:15], s[0:1]
	s_wait_loadcnt_dscnt 0x0
	global_store_b64 v0, v[2:3], s[0:1] scale_offset
.LBB38_2:
	s_endpgm
	.section	.rodata,"a",@progbits
	.p2align	6, 0x0
	.amdhsa_kernel _ZN9rocsolver6v33100L9copymatA1IdPKPdEEviiT0_iilPT_
		.amdhsa_group_segment_fixed_size 0
		.amdhsa_private_segment_fixed_size 0
		.amdhsa_kernarg_size 296
		.amdhsa_user_sgpr_count 2
		.amdhsa_user_sgpr_dispatch_ptr 0
		.amdhsa_user_sgpr_queue_ptr 0
		.amdhsa_user_sgpr_kernarg_segment_ptr 1
		.amdhsa_user_sgpr_dispatch_id 0
		.amdhsa_user_sgpr_kernarg_preload_length 0
		.amdhsa_user_sgpr_kernarg_preload_offset 0
		.amdhsa_user_sgpr_private_segment_size 0
		.amdhsa_wavefront_size32 1
		.amdhsa_uses_dynamic_stack 0
		.amdhsa_enable_private_segment 0
		.amdhsa_system_sgpr_workgroup_id_x 1
		.amdhsa_system_sgpr_workgroup_id_y 1
		.amdhsa_system_sgpr_workgroup_id_z 1
		.amdhsa_system_sgpr_workgroup_info 0
		.amdhsa_system_vgpr_workitem_id 1
		.amdhsa_next_free_vgpr 4
		.amdhsa_next_free_sgpr 18
		.amdhsa_named_barrier_count 0
		.amdhsa_reserve_vcc 1
		.amdhsa_float_round_mode_32 0
		.amdhsa_float_round_mode_16_64 0
		.amdhsa_float_denorm_mode_32 3
		.amdhsa_float_denorm_mode_16_64 3
		.amdhsa_fp16_overflow 0
		.amdhsa_memory_ordered 1
		.amdhsa_forward_progress 1
		.amdhsa_inst_pref_size 3
		.amdhsa_round_robin_scheduling 0
		.amdhsa_exception_fp_ieee_invalid_op 0
		.amdhsa_exception_fp_denorm_src 0
		.amdhsa_exception_fp_ieee_div_zero 0
		.amdhsa_exception_fp_ieee_overflow 0
		.amdhsa_exception_fp_ieee_underflow 0
		.amdhsa_exception_fp_ieee_inexact 0
		.amdhsa_exception_int_div_zero 0
	.end_amdhsa_kernel
	.section	.text._ZN9rocsolver6v33100L9copymatA1IdPKPdEEviiT0_iilPT_,"axG",@progbits,_ZN9rocsolver6v33100L9copymatA1IdPKPdEEviiT0_iilPT_,comdat
.Lfunc_end38:
	.size	_ZN9rocsolver6v33100L9copymatA1IdPKPdEEviiT0_iilPT_, .Lfunc_end38-_ZN9rocsolver6v33100L9copymatA1IdPKPdEEviiT0_iilPT_
                                        ; -- End function
	.set _ZN9rocsolver6v33100L9copymatA1IdPKPdEEviiT0_iilPT_.num_vgpr, 4
	.set _ZN9rocsolver6v33100L9copymatA1IdPKPdEEviiT0_iilPT_.num_agpr, 0
	.set _ZN9rocsolver6v33100L9copymatA1IdPKPdEEviiT0_iilPT_.numbered_sgpr, 18
	.set _ZN9rocsolver6v33100L9copymatA1IdPKPdEEviiT0_iilPT_.num_named_barrier, 0
	.set _ZN9rocsolver6v33100L9copymatA1IdPKPdEEviiT0_iilPT_.private_seg_size, 0
	.set _ZN9rocsolver6v33100L9copymatA1IdPKPdEEviiT0_iilPT_.uses_vcc, 1
	.set _ZN9rocsolver6v33100L9copymatA1IdPKPdEEviiT0_iilPT_.uses_flat_scratch, 0
	.set _ZN9rocsolver6v33100L9copymatA1IdPKPdEEviiT0_iilPT_.has_dyn_sized_stack, 0
	.set _ZN9rocsolver6v33100L9copymatA1IdPKPdEEviiT0_iilPT_.has_recursion, 0
	.set _ZN9rocsolver6v33100L9copymatA1IdPKPdEEviiT0_iilPT_.has_indirect_call, 0
	.section	.AMDGPU.csdata,"",@progbits
; Kernel info:
; codeLenInByte = 360
; TotalNumSgprs: 20
; NumVgprs: 4
; ScratchSize: 0
; MemoryBound: 0
; FloatMode: 240
; IeeeMode: 1
; LDSByteSize: 0 bytes/workgroup (compile time only)
; SGPRBlocks: 0
; VGPRBlocks: 0
; NumSGPRsForWavesPerEU: 20
; NumVGPRsForWavesPerEU: 4
; NamedBarCnt: 0
; Occupancy: 16
; WaveLimiterHint : 1
; COMPUTE_PGM_RSRC2:SCRATCH_EN: 0
; COMPUTE_PGM_RSRC2:USER_SGPR: 2
; COMPUTE_PGM_RSRC2:TRAP_HANDLER: 0
; COMPUTE_PGM_RSRC2:TGID_X_EN: 1
; COMPUTE_PGM_RSRC2:TGID_Y_EN: 1
; COMPUTE_PGM_RSRC2:TGID_Z_EN: 1
; COMPUTE_PGM_RSRC2:TIDIG_COMP_CNT: 1
	.section	.text._ZN9rocsolver6v33100L8addmatA1IdPKPdEEviiT0_iilPT_,"axG",@progbits,_ZN9rocsolver6v33100L8addmatA1IdPKPdEEviiT0_iilPT_,comdat
	.globl	_ZN9rocsolver6v33100L8addmatA1IdPKPdEEviiT0_iilPT_ ; -- Begin function _ZN9rocsolver6v33100L8addmatA1IdPKPdEEviiT0_iilPT_
	.p2align	8
	.type	_ZN9rocsolver6v33100L8addmatA1IdPKPdEEviiT0_iilPT_,@function
_ZN9rocsolver6v33100L8addmatA1IdPKPdEEviiT0_iilPT_: ; @_ZN9rocsolver6v33100L8addmatA1IdPKPdEEviiT0_iilPT_
; %bb.0:
	s_clause 0x1
	s_load_b32 s2, s[0:1], 0x34
	s_load_b64 s[4:5], s[0:1], 0x0
	s_bfe_u32 s7, ttmp6, 0x40010
	s_bfe_u32 s10, ttmp6, 0x4000c
	s_and_b32 s3, ttmp7, 0xffff
	s_add_co_i32 s7, s7, 1
	s_add_co_i32 s10, s10, 1
	s_bfe_u32 s8, ttmp6, 0x40004
	s_and_b32 s9, ttmp6, 15
	s_mul_i32 s7, s3, s7
	s_mul_i32 s10, ttmp9, s10
	s_getreg_b32 s6, hwreg(HW_REG_IB_STS2, 6, 4)
	v_and_b32_e32 v1, 0x3ff, v0
	v_bfe_u32 v0, v0, 10, 10
	s_add_co_i32 s8, s8, s7
	s_add_co_i32 s9, s9, s10
	s_wait_kmcnt 0x0
	s_lshr_b32 s7, s2, 16
	s_and_b32 s2, s2, 0xffff
	s_cmp_eq_u32 s6, 0
	s_cselect_b32 s3, s3, s8
	s_cselect_b32 s8, ttmp9, s9
	v_mad_u32 v0, s3, s7, v0
	v_mad_u32 v1, s8, s2, v1
	s_mov_b32 s3, 0
	s_delay_alu instid0(VALU_DEP_2) | instskip(NEXT) | instid1(VALU_DEP_2)
	v_cmp_gt_u32_e32 vcc_lo, s4, v0
	v_cmp_gt_u32_e64 s2, s5, v1
	s_and_b32 s2, s2, vcc_lo
	s_delay_alu instid0(SALU_CYCLE_1)
	s_and_saveexec_b32 s7, s2
	s_cbranch_execz .LBB39_2
; %bb.1:
	s_load_b128 s[8:11], s[0:1], 0x8
	s_bfe_u32 s2, ttmp6, 0x40014
	s_lshr_b32 s12, ttmp7, 16
	s_add_co_i32 s2, s2, 1
	s_bfe_u32 s14, ttmp6, 0x40008
	s_mul_i32 s2, s12, s2
	s_ashr_i32 s7, s4, 31
	s_ashr_i32 s13, s5, 31
	s_add_co_i32 s14, s14, s2
	s_cmp_eq_u32 s6, 0
	v_mad_u32 v4, v1, s4, v0
	s_cselect_b32 s2, s12, s14
	s_mov_b32 s6, s4
	s_mov_b32 s12, s5
	s_load_b64 s[14:15], s[0:1], 0x20
	s_wait_kmcnt 0x0
	s_load_b64 s[16:17], s[8:9], s2 offset:0x0 scale_offset
	v_mad_u32 v5, v1, s11, v0
	s_mul_u64 s[0:1], s[6:7], s[2:3]
	s_ashr_i32 s3, s10, 31
	s_mul_u64 s[0:1], s[0:1], s[12:13]
	s_wait_xcnt 0x0
	s_mov_b32 s2, s10
	s_lshl_b64 s[0:1], s[0:1], 3
	s_lshl_b64 s[2:3], s[2:3], 3
	s_add_nc_u64 s[0:1], s[14:15], s[0:1]
	s_wait_kmcnt 0x0
	s_add_nc_u64 s[2:3], s[16:17], s[2:3]
	global_load_b64 v[0:1], v4, s[0:1] scale_offset
	flat_load_b64 v[2:3], v5, s[2:3] scale_offset
	s_wait_loadcnt_dscnt 0x0
	v_add_f64_e64 v[0:1], v[2:3], -v[0:1]
	flat_store_b64 v5, v[0:1], s[2:3] scale_offset
.LBB39_2:
	s_endpgm
	.section	.rodata,"a",@progbits
	.p2align	6, 0x0
	.amdhsa_kernel _ZN9rocsolver6v33100L8addmatA1IdPKPdEEviiT0_iilPT_
		.amdhsa_group_segment_fixed_size 0
		.amdhsa_private_segment_fixed_size 0
		.amdhsa_kernarg_size 296
		.amdhsa_user_sgpr_count 2
		.amdhsa_user_sgpr_dispatch_ptr 0
		.amdhsa_user_sgpr_queue_ptr 0
		.amdhsa_user_sgpr_kernarg_segment_ptr 1
		.amdhsa_user_sgpr_dispatch_id 0
		.amdhsa_user_sgpr_kernarg_preload_length 0
		.amdhsa_user_sgpr_kernarg_preload_offset 0
		.amdhsa_user_sgpr_private_segment_size 0
		.amdhsa_wavefront_size32 1
		.amdhsa_uses_dynamic_stack 0
		.amdhsa_enable_private_segment 0
		.amdhsa_system_sgpr_workgroup_id_x 1
		.amdhsa_system_sgpr_workgroup_id_y 1
		.amdhsa_system_sgpr_workgroup_id_z 1
		.amdhsa_system_sgpr_workgroup_info 0
		.amdhsa_system_vgpr_workitem_id 1
		.amdhsa_next_free_vgpr 6
		.amdhsa_next_free_sgpr 18
		.amdhsa_named_barrier_count 0
		.amdhsa_reserve_vcc 1
		.amdhsa_float_round_mode_32 0
		.amdhsa_float_round_mode_16_64 0
		.amdhsa_float_denorm_mode_32 3
		.amdhsa_float_denorm_mode_16_64 3
		.amdhsa_fp16_overflow 0
		.amdhsa_memory_ordered 1
		.amdhsa_forward_progress 1
		.amdhsa_inst_pref_size 3
		.amdhsa_round_robin_scheduling 0
		.amdhsa_exception_fp_ieee_invalid_op 0
		.amdhsa_exception_fp_denorm_src 0
		.amdhsa_exception_fp_ieee_div_zero 0
		.amdhsa_exception_fp_ieee_overflow 0
		.amdhsa_exception_fp_ieee_underflow 0
		.amdhsa_exception_fp_ieee_inexact 0
		.amdhsa_exception_int_div_zero 0
	.end_amdhsa_kernel
	.section	.text._ZN9rocsolver6v33100L8addmatA1IdPKPdEEviiT0_iilPT_,"axG",@progbits,_ZN9rocsolver6v33100L8addmatA1IdPKPdEEviiT0_iilPT_,comdat
.Lfunc_end39:
	.size	_ZN9rocsolver6v33100L8addmatA1IdPKPdEEviiT0_iilPT_, .Lfunc_end39-_ZN9rocsolver6v33100L8addmatA1IdPKPdEEviiT0_iilPT_
                                        ; -- End function
	.set _ZN9rocsolver6v33100L8addmatA1IdPKPdEEviiT0_iilPT_.num_vgpr, 6
	.set _ZN9rocsolver6v33100L8addmatA1IdPKPdEEviiT0_iilPT_.num_agpr, 0
	.set _ZN9rocsolver6v33100L8addmatA1IdPKPdEEviiT0_iilPT_.numbered_sgpr, 18
	.set _ZN9rocsolver6v33100L8addmatA1IdPKPdEEviiT0_iilPT_.num_named_barrier, 0
	.set _ZN9rocsolver6v33100L8addmatA1IdPKPdEEviiT0_iilPT_.private_seg_size, 0
	.set _ZN9rocsolver6v33100L8addmatA1IdPKPdEEviiT0_iilPT_.uses_vcc, 1
	.set _ZN9rocsolver6v33100L8addmatA1IdPKPdEEviiT0_iilPT_.uses_flat_scratch, 0
	.set _ZN9rocsolver6v33100L8addmatA1IdPKPdEEviiT0_iilPT_.has_dyn_sized_stack, 0
	.set _ZN9rocsolver6v33100L8addmatA1IdPKPdEEviiT0_iilPT_.has_recursion, 0
	.set _ZN9rocsolver6v33100L8addmatA1IdPKPdEEviiT0_iilPT_.has_indirect_call, 0
	.section	.AMDGPU.csdata,"",@progbits
; Kernel info:
; codeLenInByte = 372
; TotalNumSgprs: 20
; NumVgprs: 6
; ScratchSize: 0
; MemoryBound: 0
; FloatMode: 240
; IeeeMode: 1
; LDSByteSize: 0 bytes/workgroup (compile time only)
; SGPRBlocks: 0
; VGPRBlocks: 0
; NumSGPRsForWavesPerEU: 20
; NumVGPRsForWavesPerEU: 6
; NamedBarCnt: 0
; Occupancy: 16
; WaveLimiterHint : 1
; COMPUTE_PGM_RSRC2:SCRATCH_EN: 0
; COMPUTE_PGM_RSRC2:USER_SGPR: 2
; COMPUTE_PGM_RSRC2:TRAP_HANDLER: 0
; COMPUTE_PGM_RSRC2:TGID_X_EN: 1
; COMPUTE_PGM_RSRC2:TGID_Y_EN: 1
; COMPUTE_PGM_RSRC2:TGID_Z_EN: 1
; COMPUTE_PGM_RSRC2:TIDIG_COMP_CNT: 1
	.section	.text._ZN9rocsolver6v33100L17check_singularityIdPKPdEEviT0_iilPi,"axG",@progbits,_ZN9rocsolver6v33100L17check_singularityIdPKPdEEviT0_iilPi,comdat
	.globl	_ZN9rocsolver6v33100L17check_singularityIdPKPdEEviT0_iilPi ; -- Begin function _ZN9rocsolver6v33100L17check_singularityIdPKPdEEviT0_iilPi
	.p2align	8
	.type	_ZN9rocsolver6v33100L17check_singularityIdPKPdEEviT0_iilPi,@function
_ZN9rocsolver6v33100L17check_singularityIdPKPdEEviT0_iilPi: ; @_ZN9rocsolver6v33100L17check_singularityIdPKPdEEviT0_iilPi
; %bb.0:
	s_bfe_u32 s2, ttmp6, 0x4000c
	v_bfe_u32 v0, v0, 10, 10
	s_add_co_i32 s2, s2, 1
	s_and_b32 s3, ttmp6, 15
	s_mul_i32 s2, ttmp9, s2
	s_getreg_b32 s4, hwreg(HW_REG_IB_STS2, 6, 4)
	s_add_co_i32 s3, s3, s2
	s_cmp_eq_u32 s4, 0
	v_cmp_eq_u32_e32 vcc_lo, 0, v0
	s_cselect_b32 s4, ttmp9, s3
	s_delay_alu instid0(SALU_CYCLE_1)
	s_ashr_i32 s5, s4, 31
	s_and_saveexec_b32 s2, vcc_lo
; %bb.1:
	v_mov_b32_e32 v1, 0
	ds_store_b32 v1, v1
; %bb.2:
	s_or_b32 exec_lo, exec_lo, s2
	s_load_b32 s8, s[0:1], 0x0
	s_mov_b32 s9, exec_lo
	s_wait_dscnt 0x0
	s_barrier_signal -1
	s_barrier_wait -1
	s_wait_kmcnt 0x0
	v_cmpx_gt_i32_e64 s8, v0
	s_cbranch_execz .LBB40_9
; %bb.3:
	s_clause 0x1
	s_load_b128 s[12:15], s[0:1], 0x8
	s_load_u16 s10, s[0:1], 0x36
	s_lshl_b64 s[2:3], s[4:5], 3
	v_mov_b32_e32 v1, 0
	s_wait_kmcnt 0x0
	s_add_nc_u64 s[2:3], s[12:13], s[2:3]
	s_ashr_i32 s7, s14, 31
	s_load_b64 s[2:3], s[2:3], 0x0
	s_mov_b32 s6, s14
	s_add_co_i32 s11, s15, 1
	s_lshl_b64 s[6:7], s[6:7], 3
	s_mov_b32 s12, 0
	s_wait_kmcnt 0x0
	s_add_nc_u64 s[6:7], s[2:3], s[6:7]
	s_branch .LBB40_5
.LBB40_4:                               ;   in Loop: Header=BB40_5 Depth=1
	s_or_b32 exec_lo, exec_lo, s13
	v_add_nc_u32_e32 v0, s10, v0
	s_delay_alu instid0(VALU_DEP_1) | instskip(SKIP_1) | instid1(SALU_CYCLE_1)
	v_cmp_le_i32_e64 s2, s8, v0
	s_or_b32 s12, s2, s12
	s_and_not1_b32 exec_lo, exec_lo, s12
	s_cbranch_execz .LBB40_9
.LBB40_5:                               ; =>This Loop Header: Depth=1
                                        ;     Child Loop BB40_8 Depth 2
	v_mul_lo_u32 v2, v0, s11
	s_mov_b32 s13, exec_lo
	flat_load_b64 v[2:3], v2, s[6:7] scale_offset
	s_wait_loadcnt_dscnt 0x0
	v_cmpx_eq_f64_e32 0, v[2:3]
	s_cbranch_execz .LBB40_4
; %bb.6:                                ;   in Loop: Header=BB40_5 Depth=1
	ds_load_b32 v2, v1
	s_wait_dscnt 0x0
	v_readfirstlane_b32 s3, v2
	v_add_nc_u32_e32 v2, 1, v0
	s_cmp_eq_u32 s3, 0
	s_delay_alu instid0(VALU_DEP_1) | instskip(SKIP_1) | instid1(SALU_CYCLE_1)
	v_cmp_gt_i32_e64 s2, s3, v2
	s_cselect_b32 s14, -1, 0
	s_or_b32 s2, s14, s2
	s_delay_alu instid0(SALU_CYCLE_1)
	s_and_b32 exec_lo, exec_lo, s2
	s_cbranch_execz .LBB40_4
; %bb.7:                                ;   in Loop: Header=BB40_5 Depth=1
	v_mov_b32_e32 v3, s3
	s_mov_b32 s14, 0
.LBB40_8:                               ;   Parent Loop BB40_5 Depth=1
                                        ; =>  This Inner Loop Header: Depth=2
	ds_cmpstore_rtn_b32 v3, v1, v2, v3
	s_wait_dscnt 0x0
	v_cmp_ne_u32_e64 s2, 0, v3
	v_cmp_le_i32_e64 s3, v3, v2
	s_and_b32 s2, s2, s3
	s_delay_alu instid0(SALU_CYCLE_1) | instskip(NEXT) | instid1(SALU_CYCLE_1)
	s_and_b32 s2, exec_lo, s2
	s_or_b32 s14, s2, s14
	s_delay_alu instid0(SALU_CYCLE_1)
	s_and_not1_b32 exec_lo, exec_lo, s14
	s_cbranch_execnz .LBB40_8
	s_branch .LBB40_4
.LBB40_9:
	s_or_b32 exec_lo, exec_lo, s9
	s_barrier_signal -1
	s_barrier_wait -1
	s_and_saveexec_b32 s2, vcc_lo
	s_cbranch_execz .LBB40_11
; %bb.10:
	v_mov_b32_e32 v0, 0
	s_load_b64 s[0:1], s[0:1], 0x20
	s_lshl_b64 s[2:3], s[4:5], 2
	ds_load_b32 v1, v0
	s_wait_kmcnt 0x0
	s_add_nc_u64 s[0:1], s[0:1], s[2:3]
	s_wait_dscnt 0x0
	global_store_b32 v0, v1, s[0:1]
.LBB40_11:
	s_endpgm
	.section	.rodata,"a",@progbits
	.p2align	6, 0x0
	.amdhsa_kernel _ZN9rocsolver6v33100L17check_singularityIdPKPdEEviT0_iilPi
		.amdhsa_group_segment_fixed_size 4
		.amdhsa_private_segment_fixed_size 0
		.amdhsa_kernarg_size 296
		.amdhsa_user_sgpr_count 2
		.amdhsa_user_sgpr_dispatch_ptr 0
		.amdhsa_user_sgpr_queue_ptr 0
		.amdhsa_user_sgpr_kernarg_segment_ptr 1
		.amdhsa_user_sgpr_dispatch_id 0
		.amdhsa_user_sgpr_kernarg_preload_length 0
		.amdhsa_user_sgpr_kernarg_preload_offset 0
		.amdhsa_user_sgpr_private_segment_size 0
		.amdhsa_wavefront_size32 1
		.amdhsa_uses_dynamic_stack 0
		.amdhsa_enable_private_segment 0
		.amdhsa_system_sgpr_workgroup_id_x 1
		.amdhsa_system_sgpr_workgroup_id_y 0
		.amdhsa_system_sgpr_workgroup_id_z 0
		.amdhsa_system_sgpr_workgroup_info 0
		.amdhsa_system_vgpr_workitem_id 1
		.amdhsa_next_free_vgpr 4
		.amdhsa_next_free_sgpr 16
		.amdhsa_named_barrier_count 0
		.amdhsa_reserve_vcc 1
		.amdhsa_float_round_mode_32 0
		.amdhsa_float_round_mode_16_64 0
		.amdhsa_float_denorm_mode_32 3
		.amdhsa_float_denorm_mode_16_64 3
		.amdhsa_fp16_overflow 0
		.amdhsa_memory_ordered 1
		.amdhsa_forward_progress 1
		.amdhsa_inst_pref_size 4
		.amdhsa_round_robin_scheduling 0
		.amdhsa_exception_fp_ieee_invalid_op 0
		.amdhsa_exception_fp_denorm_src 0
		.amdhsa_exception_fp_ieee_div_zero 0
		.amdhsa_exception_fp_ieee_overflow 0
		.amdhsa_exception_fp_ieee_underflow 0
		.amdhsa_exception_fp_ieee_inexact 0
		.amdhsa_exception_int_div_zero 0
	.end_amdhsa_kernel
	.section	.text._ZN9rocsolver6v33100L17check_singularityIdPKPdEEviT0_iilPi,"axG",@progbits,_ZN9rocsolver6v33100L17check_singularityIdPKPdEEviT0_iilPi,comdat
.Lfunc_end40:
	.size	_ZN9rocsolver6v33100L17check_singularityIdPKPdEEviT0_iilPi, .Lfunc_end40-_ZN9rocsolver6v33100L17check_singularityIdPKPdEEviT0_iilPi
                                        ; -- End function
	.set _ZN9rocsolver6v33100L17check_singularityIdPKPdEEviT0_iilPi.num_vgpr, 4
	.set _ZN9rocsolver6v33100L17check_singularityIdPKPdEEviT0_iilPi.num_agpr, 0
	.set _ZN9rocsolver6v33100L17check_singularityIdPKPdEEviT0_iilPi.numbered_sgpr, 16
	.set _ZN9rocsolver6v33100L17check_singularityIdPKPdEEviT0_iilPi.num_named_barrier, 0
	.set _ZN9rocsolver6v33100L17check_singularityIdPKPdEEviT0_iilPi.private_seg_size, 0
	.set _ZN9rocsolver6v33100L17check_singularityIdPKPdEEviT0_iilPi.uses_vcc, 1
	.set _ZN9rocsolver6v33100L17check_singularityIdPKPdEEviT0_iilPi.uses_flat_scratch, 0
	.set _ZN9rocsolver6v33100L17check_singularityIdPKPdEEviT0_iilPi.has_dyn_sized_stack, 0
	.set _ZN9rocsolver6v33100L17check_singularityIdPKPdEEviT0_iilPi.has_recursion, 0
	.set _ZN9rocsolver6v33100L17check_singularityIdPKPdEEviT0_iilPi.has_indirect_call, 0
	.section	.AMDGPU.csdata,"",@progbits
; Kernel info:
; codeLenInByte = 456
; TotalNumSgprs: 18
; NumVgprs: 4
; ScratchSize: 0
; MemoryBound: 0
; FloatMode: 240
; IeeeMode: 1
; LDSByteSize: 4 bytes/workgroup (compile time only)
; SGPRBlocks: 0
; VGPRBlocks: 0
; NumSGPRsForWavesPerEU: 18
; NumVGPRsForWavesPerEU: 4
; NamedBarCnt: 0
; Occupancy: 16
; WaveLimiterHint : 1
; COMPUTE_PGM_RSRC2:SCRATCH_EN: 0
; COMPUTE_PGM_RSRC2:USER_SGPR: 2
; COMPUTE_PGM_RSRC2:TRAP_HANDLER: 0
; COMPUTE_PGM_RSRC2:TGID_X_EN: 1
; COMPUTE_PGM_RSRC2:TGID_Y_EN: 0
; COMPUTE_PGM_RSRC2:TGID_Z_EN: 0
; COMPUTE_PGM_RSRC2:TIDIG_COMP_CNT: 1
	.section	.text._ZN9rocsolver6v33100L8copy_matIdPKPdNS0_9info_maskEEEvNS0_17copymat_directionEiiT0_iilPT_T1_13rocblas_fill_17rocblas_diagonal_,"axG",@progbits,_ZN9rocsolver6v33100L8copy_matIdPKPdNS0_9info_maskEEEvNS0_17copymat_directionEiiT0_iilPT_T1_13rocblas_fill_17rocblas_diagonal_,comdat
	.globl	_ZN9rocsolver6v33100L8copy_matIdPKPdNS0_9info_maskEEEvNS0_17copymat_directionEiiT0_iilPT_T1_13rocblas_fill_17rocblas_diagonal_ ; -- Begin function _ZN9rocsolver6v33100L8copy_matIdPKPdNS0_9info_maskEEEvNS0_17copymat_directionEiiT0_iilPT_T1_13rocblas_fill_17rocblas_diagonal_
	.p2align	8
	.type	_ZN9rocsolver6v33100L8copy_matIdPKPdNS0_9info_maskEEEvNS0_17copymat_directionEiiT0_iilPT_T1_13rocblas_fill_17rocblas_diagonal_,@function
_ZN9rocsolver6v33100L8copy_matIdPKPdNS0_9info_maskEEEvNS0_17copymat_directionEiiT0_iilPT_T1_13rocblas_fill_17rocblas_diagonal_: ; @_ZN9rocsolver6v33100L8copy_matIdPKPdNS0_9info_maskEEEvNS0_17copymat_directionEiiT0_iilPT_T1_13rocblas_fill_17rocblas_diagonal_
; %bb.0:
	s_clause 0x2
	s_load_b32 s2, s[0:1], 0x38
	s_load_b32 s3, s[0:1], 0x54
	s_load_b128 s[4:7], s[0:1], 0x28
	s_bfe_u32 s9, ttmp6, 0x4000c
	s_bfe_u32 s10, ttmp6, 0x40010
	;; [unrolled: 1-line block ×3, first 2 shown]
	s_add_co_i32 s9, s9, 1
	s_and_b32 s8, ttmp6, 15
	s_and_b32 s11, ttmp7, 0xffff
	s_lshr_b32 s13, ttmp7, 16
	s_add_co_i32 s10, s10, 1
	s_add_co_i32 s14, s14, 1
	s_mul_i32 s9, ttmp9, s9
	s_bfe_u32 s12, ttmp6, 0x40004
	s_mul_i32 s10, s11, s10
	s_mul_i32 s14, s13, s14
	s_add_co_i32 s15, s8, s9
	s_bfe_u32 s8, ttmp6, 0x40008
	s_getreg_b32 s9, hwreg(HW_REG_IB_STS2, 6, 4)
	s_add_co_i32 s16, s12, s10
	s_wait_kmcnt 0x0
	s_and_b32 s17, s2, 0xff
	s_lshr_b32 s2, s3, 16
	s_and_b32 s3, s3, 0xffff
	s_add_co_i32 s8, s8, s14
	s_cmp_eq_u32 s9, 0
	v_bfe_u32 v1, v0, 10, 10
	s_cselect_b32 s12, s13, s8
	s_load_b32 s13, s[6:7], s12 offset:0x0 scale_offset
	s_load_b96 s[8:10], s[0:1], 0x0
	v_and_b32_e32 v2, 0x3ff, v0
	s_wait_xcnt 0x0
	s_cselect_b32 s6, s11, s16
	s_cselect_b32 s7, ttmp9, s15
	v_mad_u32 v0, s6, s2, v1
	v_mad_u32 v1, s7, s3, v2
	s_wait_kmcnt 0x0
	s_cmp_lg_u32 s13, 0
	s_delay_alu instid0(VALU_DEP_1) | instskip(SKIP_1) | instid1(SALU_CYCLE_1)
	v_cmp_gt_u32_e32 vcc_lo, s9, v1
	s_cselect_b32 s2, -1, 0
	v_cndmask_b32_e64 v2, 0, 1, s2
	s_delay_alu instid0(VALU_DEP_4) | instskip(NEXT) | instid1(VALU_DEP_2)
	v_cmp_gt_u32_e64 s2, s10, v0
	v_readfirstlane_b32 s3, v2
	s_cmp_lg_u32 s17, s3
	s_cselect_b32 s3, -1, 0
	s_and_b32 s2, s2, vcc_lo
	s_delay_alu instid0(SALU_CYCLE_1) | instskip(NEXT) | instid1(SALU_CYCLE_1)
	s_and_b32 s2, s2, s3
	s_and_saveexec_b32 s3, s2
	s_cbranch_execz .LBB41_16
; %bb.1:
	s_load_b64 s[6:7], s[0:1], 0x40
	s_wait_kmcnt 0x0
	s_cmp_lt_i32 s6, 0x7a
	s_cbranch_scc1 .LBB41_4
; %bb.2:
	s_cmp_gt_i32 s6, 0x7a
	s_cbranch_scc0 .LBB41_5
; %bb.3:
	s_cmp_lg_u32 s6, 0x7b
	s_mov_b32 s3, -1
	s_cselect_b32 s11, -1, 0
	s_cbranch_execz .LBB41_6
	s_branch .LBB41_7
.LBB41_4:
	s_mov_b32 s11, 0
	s_mov_b32 s3, 0
	s_cbranch_execnz .LBB41_8
	s_branch .LBB41_10
.LBB41_5:
	s_mov_b32 s3, 0
	s_mov_b32 s11, 0
.LBB41_6:
	v_cmp_gt_u32_e32 vcc_lo, v1, v0
	v_cmp_le_u32_e64 s2, v1, v0
	s_and_not1_b32 s3, s3, exec_lo
	s_and_not1_b32 s11, s11, exec_lo
	s_and_b32 s13, vcc_lo, exec_lo
	s_and_b32 s2, s2, exec_lo
	s_or_b32 s3, s3, s13
	s_or_b32 s11, s11, s2
.LBB41_7:
	s_branch .LBB41_10
.LBB41_8:
	s_cmp_eq_u32 s6, 0x79
	s_mov_b32 s11, -1
	s_cbranch_scc0 .LBB41_10
; %bb.9:
	v_cmp_gt_u32_e32 vcc_lo, v0, v1
	v_cmp_le_u32_e64 s2, v0, v1
	s_and_not1_b32 s3, s3, exec_lo
	s_and_b32 s6, vcc_lo, exec_lo
	s_or_not1_b32 s11, s2, exec_lo
	s_or_b32 s3, s3, s6
.LBB41_10:
	s_and_saveexec_b32 s2, s11
; %bb.11:
	v_cmp_eq_u32_e32 vcc_lo, v1, v0
	s_cmp_eq_u32 s7, 0x83
	s_cselect_b32 s6, -1, 0
	s_and_not1_b32 s3, s3, exec_lo
	s_and_b32 s6, s6, vcc_lo
	s_delay_alu instid0(SALU_CYCLE_1) | instskip(NEXT) | instid1(SALU_CYCLE_1)
	s_and_b32 s6, s6, exec_lo
	s_or_b32 s3, s3, s6
; %bb.12:
	s_or_b32 exec_lo, exec_lo, s2
	s_delay_alu instid0(SALU_CYCLE_1)
	s_and_b32 exec_lo, exec_lo, s3
	s_cbranch_execz .LBB41_16
; %bb.13:
	s_load_b128 s[0:3], s[0:1], 0x10
	s_mov_b32 s6, s9
	s_ashr_i32 s7, s9, 31
	v_mad_u32 v2, v0, s6, v1
	s_mov_b32 s13, 0
	s_ashr_i32 s11, s10, 31
	s_mul_u64 s[6:7], s[6:7], s[12:13]
	s_delay_alu instid0(SALU_CYCLE_1) | instskip(NEXT) | instid1(SALU_CYCLE_1)
	s_mul_u64 s[6:7], s[6:7], s[10:11]
	s_lshl_b64 s[6:7], s[6:7], 3
	s_wait_kmcnt 0x0
	s_load_b64 s[0:1], s[0:1], s12 offset:0x0 scale_offset
	v_mad_u32 v0, v0, s3, v1
	s_ashr_i32 s3, s2, 31
	s_delay_alu instid0(SALU_CYCLE_1)
	s_lshl_b64 s[2:3], s[2:3], 3
	s_cmp_lg_u32 s8, 0
	s_wait_kmcnt 0x0
	s_add_nc_u64 s[0:1], s[0:1], s[2:3]
	s_add_nc_u64 s[2:3], s[4:5], s[6:7]
	s_cbranch_scc0 .LBB41_17
; %bb.14:
	global_load_b64 v[4:5], v2, s[2:3] scale_offset
	s_wait_loadcnt 0x0
	flat_store_b64 v0, v[4:5], s[0:1] scale_offset
	s_and_not1_b32 vcc_lo, exec_lo, s13
	s_cbranch_vccnz .LBB41_16
.LBB41_15:
	flat_load_b64 v[0:1], v0, s[0:1] scale_offset
	s_wait_loadcnt_dscnt 0x0
	global_store_b64 v2, v[0:1], s[2:3] scale_offset
.LBB41_16:
	s_endpgm
.LBB41_17:
	s_branch .LBB41_15
	.section	.rodata,"a",@progbits
	.p2align	6, 0x0
	.amdhsa_kernel _ZN9rocsolver6v33100L8copy_matIdPKPdNS0_9info_maskEEEvNS0_17copymat_directionEiiT0_iilPT_T1_13rocblas_fill_17rocblas_diagonal_
		.amdhsa_group_segment_fixed_size 0
		.amdhsa_private_segment_fixed_size 0
		.amdhsa_kernarg_size 328
		.amdhsa_user_sgpr_count 2
		.amdhsa_user_sgpr_dispatch_ptr 0
		.amdhsa_user_sgpr_queue_ptr 0
		.amdhsa_user_sgpr_kernarg_segment_ptr 1
		.amdhsa_user_sgpr_dispatch_id 0
		.amdhsa_user_sgpr_kernarg_preload_length 0
		.amdhsa_user_sgpr_kernarg_preload_offset 0
		.amdhsa_user_sgpr_private_segment_size 0
		.amdhsa_wavefront_size32 1
		.amdhsa_uses_dynamic_stack 0
		.amdhsa_enable_private_segment 0
		.amdhsa_system_sgpr_workgroup_id_x 1
		.amdhsa_system_sgpr_workgroup_id_y 1
		.amdhsa_system_sgpr_workgroup_id_z 1
		.amdhsa_system_sgpr_workgroup_info 0
		.amdhsa_system_vgpr_workitem_id 1
		.amdhsa_next_free_vgpr 6
		.amdhsa_next_free_sgpr 18
		.amdhsa_named_barrier_count 0
		.amdhsa_reserve_vcc 1
		.amdhsa_float_round_mode_32 0
		.amdhsa_float_round_mode_16_64 0
		.amdhsa_float_denorm_mode_32 3
		.amdhsa_float_denorm_mode_16_64 3
		.amdhsa_fp16_overflow 0
		.amdhsa_memory_ordered 1
		.amdhsa_forward_progress 1
		.amdhsa_inst_pref_size 6
		.amdhsa_round_robin_scheduling 0
		.amdhsa_exception_fp_ieee_invalid_op 0
		.amdhsa_exception_fp_denorm_src 0
		.amdhsa_exception_fp_ieee_div_zero 0
		.amdhsa_exception_fp_ieee_overflow 0
		.amdhsa_exception_fp_ieee_underflow 0
		.amdhsa_exception_fp_ieee_inexact 0
		.amdhsa_exception_int_div_zero 0
	.end_amdhsa_kernel
	.section	.text._ZN9rocsolver6v33100L8copy_matIdPKPdNS0_9info_maskEEEvNS0_17copymat_directionEiiT0_iilPT_T1_13rocblas_fill_17rocblas_diagonal_,"axG",@progbits,_ZN9rocsolver6v33100L8copy_matIdPKPdNS0_9info_maskEEEvNS0_17copymat_directionEiiT0_iilPT_T1_13rocblas_fill_17rocblas_diagonal_,comdat
.Lfunc_end41:
	.size	_ZN9rocsolver6v33100L8copy_matIdPKPdNS0_9info_maskEEEvNS0_17copymat_directionEiiT0_iilPT_T1_13rocblas_fill_17rocblas_diagonal_, .Lfunc_end41-_ZN9rocsolver6v33100L8copy_matIdPKPdNS0_9info_maskEEEvNS0_17copymat_directionEiiT0_iilPT_T1_13rocblas_fill_17rocblas_diagonal_
                                        ; -- End function
	.set _ZN9rocsolver6v33100L8copy_matIdPKPdNS0_9info_maskEEEvNS0_17copymat_directionEiiT0_iilPT_T1_13rocblas_fill_17rocblas_diagonal_.num_vgpr, 6
	.set _ZN9rocsolver6v33100L8copy_matIdPKPdNS0_9info_maskEEEvNS0_17copymat_directionEiiT0_iilPT_T1_13rocblas_fill_17rocblas_diagonal_.num_agpr, 0
	.set _ZN9rocsolver6v33100L8copy_matIdPKPdNS0_9info_maskEEEvNS0_17copymat_directionEiiT0_iilPT_T1_13rocblas_fill_17rocblas_diagonal_.numbered_sgpr, 18
	.set _ZN9rocsolver6v33100L8copy_matIdPKPdNS0_9info_maskEEEvNS0_17copymat_directionEiiT0_iilPT_T1_13rocblas_fill_17rocblas_diagonal_.num_named_barrier, 0
	.set _ZN9rocsolver6v33100L8copy_matIdPKPdNS0_9info_maskEEEvNS0_17copymat_directionEiiT0_iilPT_T1_13rocblas_fill_17rocblas_diagonal_.private_seg_size, 0
	.set _ZN9rocsolver6v33100L8copy_matIdPKPdNS0_9info_maskEEEvNS0_17copymat_directionEiiT0_iilPT_T1_13rocblas_fill_17rocblas_diagonal_.uses_vcc, 1
	.set _ZN9rocsolver6v33100L8copy_matIdPKPdNS0_9info_maskEEEvNS0_17copymat_directionEiiT0_iilPT_T1_13rocblas_fill_17rocblas_diagonal_.uses_flat_scratch, 0
	.set _ZN9rocsolver6v33100L8copy_matIdPKPdNS0_9info_maskEEEvNS0_17copymat_directionEiiT0_iilPT_T1_13rocblas_fill_17rocblas_diagonal_.has_dyn_sized_stack, 0
	.set _ZN9rocsolver6v33100L8copy_matIdPKPdNS0_9info_maskEEEvNS0_17copymat_directionEiiT0_iilPT_T1_13rocblas_fill_17rocblas_diagonal_.has_recursion, 0
	.set _ZN9rocsolver6v33100L8copy_matIdPKPdNS0_9info_maskEEEvNS0_17copymat_directionEiiT0_iilPT_T1_13rocblas_fill_17rocblas_diagonal_.has_indirect_call, 0
	.section	.AMDGPU.csdata,"",@progbits
; Kernel info:
; codeLenInByte = 684
; TotalNumSgprs: 20
; NumVgprs: 6
; ScratchSize: 0
; MemoryBound: 0
; FloatMode: 240
; IeeeMode: 1
; LDSByteSize: 0 bytes/workgroup (compile time only)
; SGPRBlocks: 0
; VGPRBlocks: 0
; NumSGPRsForWavesPerEU: 20
; NumVGPRsForWavesPerEU: 6
; NamedBarCnt: 0
; Occupancy: 16
; WaveLimiterHint : 1
; COMPUTE_PGM_RSRC2:SCRATCH_EN: 0
; COMPUTE_PGM_RSRC2:USER_SGPR: 2
; COMPUTE_PGM_RSRC2:TRAP_HANDLER: 0
; COMPUTE_PGM_RSRC2:TGID_X_EN: 1
; COMPUTE_PGM_RSRC2:TGID_Y_EN: 1
; COMPUTE_PGM_RSRC2:TGID_Z_EN: 1
; COMPUTE_PGM_RSRC2:TIDIG_COMP_CNT: 1
	.section	.text._ZN9rocsolver6v33100L13gels_set_zeroIdPKPdEEviiiT0_iilPKi,"axG",@progbits,_ZN9rocsolver6v33100L13gels_set_zeroIdPKPdEEviiiT0_iilPKi,comdat
	.globl	_ZN9rocsolver6v33100L13gels_set_zeroIdPKPdEEviiiT0_iilPKi ; -- Begin function _ZN9rocsolver6v33100L13gels_set_zeroIdPKPdEEviiiT0_iilPKi
	.p2align	8
	.type	_ZN9rocsolver6v33100L13gels_set_zeroIdPKPdEEviiiT0_iilPKi,@function
_ZN9rocsolver6v33100L13gels_set_zeroIdPKPdEEviiiT0_iilPKi: ; @_ZN9rocsolver6v33100L13gels_set_zeroIdPKPdEEviiiT0_iilPKi
; %bb.0:
	s_clause 0x1
	s_load_b32 s2, s[0:1], 0x3c
	s_load_b96 s[4:6], s[0:1], 0x0
	s_bfe_u32 s8, ttmp6, 0x4000c
	s_bfe_u32 s10, ttmp6, 0x40010
	s_and_b32 s9, ttmp7, 0xffff
	s_add_co_i32 s8, s8, 1
	s_add_co_i32 s10, s10, 1
	s_and_b32 s7, ttmp6, 15
	s_bfe_u32 s11, ttmp6, 0x40004
	s_mul_i32 s8, ttmp9, s8
	s_mul_i32 s10, s9, s10
	s_getreg_b32 s3, hwreg(HW_REG_IB_STS2, 6, 4)
	v_bfe_u32 v2, v0, 10, 10
	v_and_b32_e32 v0, 0x3ff, v0
	s_add_co_i32 s7, s7, s8
	s_add_co_i32 s11, s11, s10
	s_wait_kmcnt 0x0
	s_lshr_b32 s8, s2, 16
	s_and_b32 s2, s2, 0xffff
	s_cmp_eq_u32 s3, 0
	s_cselect_b32 s7, ttmp9, s7
	s_cselect_b32 s9, s9, s11
	v_mad_u32 v1, s7, s2, v0
	v_mad_u32 v0, s9, s8, v2
	s_sub_co_i32 s2, s5, s4
	s_delay_alu instid0(VALU_DEP_2) | instid1(SALU_CYCLE_1)
	v_cmp_gt_u32_e32 vcc_lo, s2, v1
	s_delay_alu instid0(VALU_DEP_2) | instskip(SKIP_1) | instid1(SALU_CYCLE_1)
	v_cmp_gt_u32_e64 s2, s6, v0
	s_and_b32 s2, s2, vcc_lo
	s_and_saveexec_b32 s5, s2
	s_cbranch_execz .LBB42_2
; %bb.1:
	s_load_b64 s[6:7], s[0:1], 0x28
	s_bfe_u32 s2, ttmp6, 0x40014
	s_lshr_b32 s5, ttmp7, 16
	s_add_co_i32 s2, s2, 1
	s_bfe_u32 s8, ttmp6, 0x40008
	s_mul_i32 s2, s5, s2
	s_delay_alu instid0(SALU_CYCLE_1)
	s_add_co_i32 s8, s8, s2
	s_cmp_eq_u32 s3, 0
	s_cselect_b32 s2, s5, s8
	s_wait_kmcnt 0x0
	s_load_b32 s3, s[6:7], s2 offset:0x0 scale_offset
	s_wait_kmcnt 0x0
	s_cmp_lg_u32 s3, 0
	s_cbranch_scc0 .LBB42_3
.LBB42_2:
	s_endpgm
.LBB42_3:
	s_load_b128 s[8:11], s[0:1], 0x10
	v_add_nc_u32_e32 v1, s4, v1
	s_wait_kmcnt 0x0
	s_load_b64 s[0:1], s[8:9], s2 offset:0x0 scale_offset
	s_delay_alu instid0(VALU_DEP_1) | instskip(SKIP_4) | instid1(SALU_CYCLE_1)
	v_mad_u32 v2, v0, s11, v1
	v_mov_b64_e32 v[0:1], 0
	s_ashr_i32 s3, s10, 31
	s_wait_xcnt 0x0
	s_mov_b32 s2, s10
	s_lshl_b64 s[2:3], s[2:3], 3
	s_wait_kmcnt 0x0
	s_add_nc_u64 s[0:1], s[0:1], s[2:3]
	flat_store_b64 v2, v[0:1], s[0:1] scale_offset
	s_endpgm
	.section	.rodata,"a",@progbits
	.p2align	6, 0x0
	.amdhsa_kernel _ZN9rocsolver6v33100L13gels_set_zeroIdPKPdEEviiiT0_iilPKi
		.amdhsa_group_segment_fixed_size 0
		.amdhsa_private_segment_fixed_size 0
		.amdhsa_kernarg_size 304
		.amdhsa_user_sgpr_count 2
		.amdhsa_user_sgpr_dispatch_ptr 0
		.amdhsa_user_sgpr_queue_ptr 0
		.amdhsa_user_sgpr_kernarg_segment_ptr 1
		.amdhsa_user_sgpr_dispatch_id 0
		.amdhsa_user_sgpr_kernarg_preload_length 0
		.amdhsa_user_sgpr_kernarg_preload_offset 0
		.amdhsa_user_sgpr_private_segment_size 0
		.amdhsa_wavefront_size32 1
		.amdhsa_uses_dynamic_stack 0
		.amdhsa_enable_private_segment 0
		.amdhsa_system_sgpr_workgroup_id_x 1
		.amdhsa_system_sgpr_workgroup_id_y 1
		.amdhsa_system_sgpr_workgroup_id_z 1
		.amdhsa_system_sgpr_workgroup_info 0
		.amdhsa_system_vgpr_workitem_id 1
		.amdhsa_next_free_vgpr 3
		.amdhsa_next_free_sgpr 12
		.amdhsa_named_barrier_count 0
		.amdhsa_reserve_vcc 1
		.amdhsa_float_round_mode_32 0
		.amdhsa_float_round_mode_16_64 0
		.amdhsa_float_denorm_mode_32 3
		.amdhsa_float_denorm_mode_16_64 3
		.amdhsa_fp16_overflow 0
		.amdhsa_memory_ordered 1
		.amdhsa_forward_progress 1
		.amdhsa_inst_pref_size 3
		.amdhsa_round_robin_scheduling 0
		.amdhsa_exception_fp_ieee_invalid_op 0
		.amdhsa_exception_fp_denorm_src 0
		.amdhsa_exception_fp_ieee_div_zero 0
		.amdhsa_exception_fp_ieee_overflow 0
		.amdhsa_exception_fp_ieee_underflow 0
		.amdhsa_exception_fp_ieee_inexact 0
		.amdhsa_exception_int_div_zero 0
	.end_amdhsa_kernel
	.section	.text._ZN9rocsolver6v33100L13gels_set_zeroIdPKPdEEviiiT0_iilPKi,"axG",@progbits,_ZN9rocsolver6v33100L13gels_set_zeroIdPKPdEEviiiT0_iilPKi,comdat
.Lfunc_end42:
	.size	_ZN9rocsolver6v33100L13gels_set_zeroIdPKPdEEviiiT0_iilPKi, .Lfunc_end42-_ZN9rocsolver6v33100L13gels_set_zeroIdPKPdEEviiiT0_iilPKi
                                        ; -- End function
	.set _ZN9rocsolver6v33100L13gels_set_zeroIdPKPdEEviiiT0_iilPKi.num_vgpr, 3
	.set _ZN9rocsolver6v33100L13gels_set_zeroIdPKPdEEviiiT0_iilPKi.num_agpr, 0
	.set _ZN9rocsolver6v33100L13gels_set_zeroIdPKPdEEviiiT0_iilPKi.numbered_sgpr, 12
	.set _ZN9rocsolver6v33100L13gels_set_zeroIdPKPdEEviiiT0_iilPKi.num_named_barrier, 0
	.set _ZN9rocsolver6v33100L13gels_set_zeroIdPKPdEEviiiT0_iilPKi.private_seg_size, 0
	.set _ZN9rocsolver6v33100L13gels_set_zeroIdPKPdEEviiiT0_iilPKi.uses_vcc, 1
	.set _ZN9rocsolver6v33100L13gels_set_zeroIdPKPdEEviiiT0_iilPKi.uses_flat_scratch, 0
	.set _ZN9rocsolver6v33100L13gels_set_zeroIdPKPdEEviiiT0_iilPKi.has_dyn_sized_stack, 0
	.set _ZN9rocsolver6v33100L13gels_set_zeroIdPKPdEEviiiT0_iilPKi.has_recursion, 0
	.set _ZN9rocsolver6v33100L13gels_set_zeroIdPKPdEEviiiT0_iilPKi.has_indirect_call, 0
	.section	.AMDGPU.csdata,"",@progbits
; Kernel info:
; codeLenInByte = 340
; TotalNumSgprs: 14
; NumVgprs: 3
; ScratchSize: 0
; MemoryBound: 0
; FloatMode: 240
; IeeeMode: 1
; LDSByteSize: 0 bytes/workgroup (compile time only)
; SGPRBlocks: 0
; VGPRBlocks: 0
; NumSGPRsForWavesPerEU: 14
; NumVGPRsForWavesPerEU: 3
; NamedBarCnt: 0
; Occupancy: 16
; WaveLimiterHint : 1
; COMPUTE_PGM_RSRC2:SCRATCH_EN: 0
; COMPUTE_PGM_RSRC2:USER_SGPR: 2
; COMPUTE_PGM_RSRC2:TRAP_HANDLER: 0
; COMPUTE_PGM_RSRC2:TGID_X_EN: 1
; COMPUTE_PGM_RSRC2:TGID_Y_EN: 1
; COMPUTE_PGM_RSRC2:TGID_Z_EN: 1
; COMPUTE_PGM_RSRC2:TIDIG_COMP_CNT: 1
	.section	.text._ZN9rocsolver6v33100L6iota_nI19rocblas_complex_numIfEEEvPT_jS4_,"axG",@progbits,_ZN9rocsolver6v33100L6iota_nI19rocblas_complex_numIfEEEvPT_jS4_,comdat
	.globl	_ZN9rocsolver6v33100L6iota_nI19rocblas_complex_numIfEEEvPT_jS4_ ; -- Begin function _ZN9rocsolver6v33100L6iota_nI19rocblas_complex_numIfEEEvPT_jS4_
	.p2align	8
	.type	_ZN9rocsolver6v33100L6iota_nI19rocblas_complex_numIfEEEvPT_jS4_,@function
_ZN9rocsolver6v33100L6iota_nI19rocblas_complex_numIfEEEvPT_jS4_: ; @_ZN9rocsolver6v33100L6iota_nI19rocblas_complex_numIfEEEvPT_jS4_
; %bb.0:
	s_load_b32 s2, s[0:1], 0x8
	s_wait_kmcnt 0x0
	v_cmp_gt_u32_e32 vcc_lo, s2, v0
	s_and_saveexec_b32 s2, vcc_lo
	s_cbranch_execz .LBB43_2
; %bb.1:
	s_clause 0x1
	s_load_b64 s[2:3], s[0:1], 0xc
	s_load_b64 s[4:5], s[0:1], 0x0
	v_cvt_f32_ubyte0_e32 v2, v0
	v_mov_b32_e32 v3, 0
	s_wait_kmcnt 0x0
	v_mov_b64_e32 v[4:5], s[2:3]
	s_delay_alu instid0(VALU_DEP_1)
	v_pk_add_f32 v[2:3], v[4:5], v[2:3]
	global_store_b64 v0, v[2:3], s[4:5] scale_offset
.LBB43_2:
	s_endpgm
	.section	.rodata,"a",@progbits
	.p2align	6, 0x0
	.amdhsa_kernel _ZN9rocsolver6v33100L6iota_nI19rocblas_complex_numIfEEEvPT_jS4_
		.amdhsa_group_segment_fixed_size 0
		.amdhsa_private_segment_fixed_size 0
		.amdhsa_kernarg_size 20
		.amdhsa_user_sgpr_count 2
		.amdhsa_user_sgpr_dispatch_ptr 0
		.amdhsa_user_sgpr_queue_ptr 0
		.amdhsa_user_sgpr_kernarg_segment_ptr 1
		.amdhsa_user_sgpr_dispatch_id 0
		.amdhsa_user_sgpr_kernarg_preload_length 0
		.amdhsa_user_sgpr_kernarg_preload_offset 0
		.amdhsa_user_sgpr_private_segment_size 0
		.amdhsa_wavefront_size32 1
		.amdhsa_uses_dynamic_stack 0
		.amdhsa_enable_private_segment 0
		.amdhsa_system_sgpr_workgroup_id_x 1
		.amdhsa_system_sgpr_workgroup_id_y 0
		.amdhsa_system_sgpr_workgroup_id_z 0
		.amdhsa_system_sgpr_workgroup_info 0
		.amdhsa_system_vgpr_workitem_id 0
		.amdhsa_next_free_vgpr 6
		.amdhsa_next_free_sgpr 6
		.amdhsa_named_barrier_count 0
		.amdhsa_reserve_vcc 1
		.amdhsa_float_round_mode_32 0
		.amdhsa_float_round_mode_16_64 0
		.amdhsa_float_denorm_mode_32 3
		.amdhsa_float_denorm_mode_16_64 3
		.amdhsa_fp16_overflow 0
		.amdhsa_memory_ordered 1
		.amdhsa_forward_progress 1
		.amdhsa_inst_pref_size 1
		.amdhsa_round_robin_scheduling 0
		.amdhsa_exception_fp_ieee_invalid_op 0
		.amdhsa_exception_fp_denorm_src 0
		.amdhsa_exception_fp_ieee_div_zero 0
		.amdhsa_exception_fp_ieee_overflow 0
		.amdhsa_exception_fp_ieee_underflow 0
		.amdhsa_exception_fp_ieee_inexact 0
		.amdhsa_exception_int_div_zero 0
	.end_amdhsa_kernel
	.section	.text._ZN9rocsolver6v33100L6iota_nI19rocblas_complex_numIfEEEvPT_jS4_,"axG",@progbits,_ZN9rocsolver6v33100L6iota_nI19rocblas_complex_numIfEEEvPT_jS4_,comdat
.Lfunc_end43:
	.size	_ZN9rocsolver6v33100L6iota_nI19rocblas_complex_numIfEEEvPT_jS4_, .Lfunc_end43-_ZN9rocsolver6v33100L6iota_nI19rocblas_complex_numIfEEEvPT_jS4_
                                        ; -- End function
	.set _ZN9rocsolver6v33100L6iota_nI19rocblas_complex_numIfEEEvPT_jS4_.num_vgpr, 6
	.set _ZN9rocsolver6v33100L6iota_nI19rocblas_complex_numIfEEEvPT_jS4_.num_agpr, 0
	.set _ZN9rocsolver6v33100L6iota_nI19rocblas_complex_numIfEEEvPT_jS4_.numbered_sgpr, 6
	.set _ZN9rocsolver6v33100L6iota_nI19rocblas_complex_numIfEEEvPT_jS4_.num_named_barrier, 0
	.set _ZN9rocsolver6v33100L6iota_nI19rocblas_complex_numIfEEEvPT_jS4_.private_seg_size, 0
	.set _ZN9rocsolver6v33100L6iota_nI19rocblas_complex_numIfEEEvPT_jS4_.uses_vcc, 1
	.set _ZN9rocsolver6v33100L6iota_nI19rocblas_complex_numIfEEEvPT_jS4_.uses_flat_scratch, 0
	.set _ZN9rocsolver6v33100L6iota_nI19rocblas_complex_numIfEEEvPT_jS4_.has_dyn_sized_stack, 0
	.set _ZN9rocsolver6v33100L6iota_nI19rocblas_complex_numIfEEEvPT_jS4_.has_recursion, 0
	.set _ZN9rocsolver6v33100L6iota_nI19rocblas_complex_numIfEEEvPT_jS4_.has_indirect_call, 0
	.section	.AMDGPU.csdata,"",@progbits
; Kernel info:
; codeLenInByte = 88
; TotalNumSgprs: 8
; NumVgprs: 6
; ScratchSize: 0
; MemoryBound: 0
; FloatMode: 240
; IeeeMode: 1
; LDSByteSize: 0 bytes/workgroup (compile time only)
; SGPRBlocks: 0
; VGPRBlocks: 0
; NumSGPRsForWavesPerEU: 8
; NumVGPRsForWavesPerEU: 6
; NamedBarCnt: 0
; Occupancy: 16
; WaveLimiterHint : 0
; COMPUTE_PGM_RSRC2:SCRATCH_EN: 0
; COMPUTE_PGM_RSRC2:USER_SGPR: 2
; COMPUTE_PGM_RSRC2:TRAP_HANDLER: 0
; COMPUTE_PGM_RSRC2:TGID_X_EN: 1
; COMPUTE_PGM_RSRC2:TGID_Y_EN: 0
; COMPUTE_PGM_RSRC2:TGID_Z_EN: 0
; COMPUTE_PGM_RSRC2:TIDIG_COMP_CNT: 0
	.section	.text._ZN9rocsolver6v33100L8set_zeroI19rocblas_complex_numIfEPKPS3_EEviiT0_iil13rocblas_fill_,"axG",@progbits,_ZN9rocsolver6v33100L8set_zeroI19rocblas_complex_numIfEPKPS3_EEviiT0_iil13rocblas_fill_,comdat
	.globl	_ZN9rocsolver6v33100L8set_zeroI19rocblas_complex_numIfEPKPS3_EEviiT0_iil13rocblas_fill_ ; -- Begin function _ZN9rocsolver6v33100L8set_zeroI19rocblas_complex_numIfEPKPS3_EEviiT0_iil13rocblas_fill_
	.p2align	8
	.type	_ZN9rocsolver6v33100L8set_zeroI19rocblas_complex_numIfEPKPS3_EEviiT0_iil13rocblas_fill_,@function
_ZN9rocsolver6v33100L8set_zeroI19rocblas_complex_numIfEPKPS3_EEviiT0_iil13rocblas_fill_: ; @_ZN9rocsolver6v33100L8set_zeroI19rocblas_complex_numIfEPKPS3_EEviiT0_iil13rocblas_fill_
; %bb.0:
	s_clause 0x1
	s_load_b32 s2, s[0:1], 0x34
	s_load_b64 s[4:5], s[0:1], 0x0
	s_bfe_u32 s7, ttmp6, 0x40010
	s_bfe_u32 s10, ttmp6, 0x4000c
	s_and_b32 s6, ttmp7, 0xffff
	s_add_co_i32 s7, s7, 1
	s_add_co_i32 s10, s10, 1
	s_bfe_u32 s8, ttmp6, 0x40004
	s_and_b32 s9, ttmp6, 15
	s_mul_i32 s7, s6, s7
	s_mul_i32 s10, ttmp9, s10
	s_getreg_b32 s3, hwreg(HW_REG_IB_STS2, 6, 4)
	v_and_b32_e32 v1, 0x3ff, v0
	v_bfe_u32 v2, v0, 10, 10
	s_add_co_i32 s8, s8, s7
	s_add_co_i32 s9, s9, s10
	s_wait_kmcnt 0x0
	s_lshr_b32 s7, s2, 16
	s_and_b32 s2, s2, 0xffff
	s_cmp_eq_u32 s3, 0
	s_cselect_b32 s9, ttmp9, s9
	s_cselect_b32 s6, s6, s8
	v_mad_u32 v0, s9, s2, v1
	v_mad_u32 v1, s6, s7, v2
	s_delay_alu instid0(VALU_DEP_2) | instskip(NEXT) | instid1(VALU_DEP_2)
	v_cmp_gt_u32_e32 vcc_lo, s4, v0
	v_cmp_gt_u32_e64 s2, s5, v1
	s_and_b32 s2, vcc_lo, s2
	s_delay_alu instid0(SALU_CYCLE_1)
	s_and_saveexec_b32 s4, s2
	s_cbranch_execz .LBB44_12
; %bb.1:
	s_load_b32 s4, s[0:1], 0x20
	s_wait_kmcnt 0x0
	s_cmp_lt_i32 s4, 0x7a
	s_cbranch_scc1 .LBB44_4
; %bb.2:
	s_cmp_gt_i32 s4, 0x7a
	s_cbranch_scc0 .LBB44_5
; %bb.3:
	s_cmp_eq_u32 s4, 0x7b
	s_cselect_b32 s2, -1, 0
	s_cbranch_execz .LBB44_6
	s_branch .LBB44_7
.LBB44_4:
	s_mov_b32 s2, 0
	s_cbranch_execnz .LBB44_8
	s_branch .LBB44_10
.LBB44_5:
	s_mov_b32 s2, 0
.LBB44_6:
	v_cmp_gt_u32_e32 vcc_lo, v1, v0
	s_and_not1_b32 s2, s2, exec_lo
	s_and_b32 s5, vcc_lo, exec_lo
	s_delay_alu instid0(SALU_CYCLE_1)
	s_or_b32 s2, s2, s5
.LBB44_7:
	s_branch .LBB44_10
.LBB44_8:
	s_cmp_eq_u32 s4, 0x79
	s_cbranch_scc0 .LBB44_10
; %bb.9:
	v_cmp_gt_u32_e32 vcc_lo, v0, v1
	s_and_not1_b32 s2, s2, exec_lo
	s_and_b32 s4, vcc_lo, exec_lo
	s_delay_alu instid0(SALU_CYCLE_1)
	s_or_b32 s2, s2, s4
.LBB44_10:
	s_delay_alu instid0(SALU_CYCLE_1)
	s_and_b32 exec_lo, exec_lo, s2
	s_cbranch_execz .LBB44_12
; %bb.11:
	s_load_b128 s[4:7], s[0:1], 0x8
	s_wait_xcnt 0x0
	s_bfe_u32 s0, ttmp6, 0x40014
	s_lshr_b32 s2, ttmp7, 16
	s_add_co_i32 s0, s0, 1
	s_bfe_u32 s8, ttmp6, 0x40008
	s_mul_i32 s0, s2, s0
	s_delay_alu instid0(SALU_CYCLE_1)
	s_add_co_i32 s8, s8, s0
	s_wait_kmcnt 0x0
	s_ashr_i32 s1, s6, 31
	s_cmp_eq_u32 s3, 0
	v_mad_u32 v2, v1, s7, v0
	s_cselect_b32 s0, s2, s8
	v_mov_b64_e32 v[0:1], 0
	s_load_b64 s[2:3], s[4:5], s0 offset:0x0 scale_offset
	s_wait_xcnt 0x0
	s_mov_b32 s0, s6
	s_delay_alu instid0(SALU_CYCLE_1)
	s_lshl_b64 s[0:1], s[0:1], 3
	s_wait_kmcnt 0x0
	s_add_nc_u64 s[0:1], s[2:3], s[0:1]
	flat_store_b64 v2, v[0:1], s[0:1] scale_offset
.LBB44_12:
	s_endpgm
	.section	.rodata,"a",@progbits
	.p2align	6, 0x0
	.amdhsa_kernel _ZN9rocsolver6v33100L8set_zeroI19rocblas_complex_numIfEPKPS3_EEviiT0_iil13rocblas_fill_
		.amdhsa_group_segment_fixed_size 0
		.amdhsa_private_segment_fixed_size 0
		.amdhsa_kernarg_size 296
		.amdhsa_user_sgpr_count 2
		.amdhsa_user_sgpr_dispatch_ptr 0
		.amdhsa_user_sgpr_queue_ptr 0
		.amdhsa_user_sgpr_kernarg_segment_ptr 1
		.amdhsa_user_sgpr_dispatch_id 0
		.amdhsa_user_sgpr_kernarg_preload_length 0
		.amdhsa_user_sgpr_kernarg_preload_offset 0
		.amdhsa_user_sgpr_private_segment_size 0
		.amdhsa_wavefront_size32 1
		.amdhsa_uses_dynamic_stack 0
		.amdhsa_enable_private_segment 0
		.amdhsa_system_sgpr_workgroup_id_x 1
		.amdhsa_system_sgpr_workgroup_id_y 1
		.amdhsa_system_sgpr_workgroup_id_z 1
		.amdhsa_system_sgpr_workgroup_info 0
		.amdhsa_system_vgpr_workitem_id 1
		.amdhsa_next_free_vgpr 3
		.amdhsa_next_free_sgpr 11
		.amdhsa_named_barrier_count 0
		.amdhsa_reserve_vcc 1
		.amdhsa_float_round_mode_32 0
		.amdhsa_float_round_mode_16_64 0
		.amdhsa_float_denorm_mode_32 3
		.amdhsa_float_denorm_mode_16_64 3
		.amdhsa_fp16_overflow 0
		.amdhsa_memory_ordered 1
		.amdhsa_forward_progress 1
		.amdhsa_inst_pref_size 4
		.amdhsa_round_robin_scheduling 0
		.amdhsa_exception_fp_ieee_invalid_op 0
		.amdhsa_exception_fp_denorm_src 0
		.amdhsa_exception_fp_ieee_div_zero 0
		.amdhsa_exception_fp_ieee_overflow 0
		.amdhsa_exception_fp_ieee_underflow 0
		.amdhsa_exception_fp_ieee_inexact 0
		.amdhsa_exception_int_div_zero 0
	.end_amdhsa_kernel
	.section	.text._ZN9rocsolver6v33100L8set_zeroI19rocblas_complex_numIfEPKPS3_EEviiT0_iil13rocblas_fill_,"axG",@progbits,_ZN9rocsolver6v33100L8set_zeroI19rocblas_complex_numIfEPKPS3_EEviiT0_iil13rocblas_fill_,comdat
.Lfunc_end44:
	.size	_ZN9rocsolver6v33100L8set_zeroI19rocblas_complex_numIfEPKPS3_EEviiT0_iil13rocblas_fill_, .Lfunc_end44-_ZN9rocsolver6v33100L8set_zeroI19rocblas_complex_numIfEPKPS3_EEviiT0_iil13rocblas_fill_
                                        ; -- End function
	.set _ZN9rocsolver6v33100L8set_zeroI19rocblas_complex_numIfEPKPS3_EEviiT0_iil13rocblas_fill_.num_vgpr, 3
	.set _ZN9rocsolver6v33100L8set_zeroI19rocblas_complex_numIfEPKPS3_EEviiT0_iil13rocblas_fill_.num_agpr, 0
	.set _ZN9rocsolver6v33100L8set_zeroI19rocblas_complex_numIfEPKPS3_EEviiT0_iil13rocblas_fill_.numbered_sgpr, 11
	.set _ZN9rocsolver6v33100L8set_zeroI19rocblas_complex_numIfEPKPS3_EEviiT0_iil13rocblas_fill_.num_named_barrier, 0
	.set _ZN9rocsolver6v33100L8set_zeroI19rocblas_complex_numIfEPKPS3_EEviiT0_iil13rocblas_fill_.private_seg_size, 0
	.set _ZN9rocsolver6v33100L8set_zeroI19rocblas_complex_numIfEPKPS3_EEviiT0_iil13rocblas_fill_.uses_vcc, 1
	.set _ZN9rocsolver6v33100L8set_zeroI19rocblas_complex_numIfEPKPS3_EEviiT0_iil13rocblas_fill_.uses_flat_scratch, 0
	.set _ZN9rocsolver6v33100L8set_zeroI19rocblas_complex_numIfEPKPS3_EEviiT0_iil13rocblas_fill_.has_dyn_sized_stack, 0
	.set _ZN9rocsolver6v33100L8set_zeroI19rocblas_complex_numIfEPKPS3_EEviiT0_iil13rocblas_fill_.has_recursion, 0
	.set _ZN9rocsolver6v33100L8set_zeroI19rocblas_complex_numIfEPKPS3_EEviiT0_iil13rocblas_fill_.has_indirect_call, 0
	.section	.AMDGPU.csdata,"",@progbits
; Kernel info:
; codeLenInByte = 440
; TotalNumSgprs: 13
; NumVgprs: 3
; ScratchSize: 0
; MemoryBound: 0
; FloatMode: 240
; IeeeMode: 1
; LDSByteSize: 0 bytes/workgroup (compile time only)
; SGPRBlocks: 0
; VGPRBlocks: 0
; NumSGPRsForWavesPerEU: 13
; NumVGPRsForWavesPerEU: 3
; NamedBarCnt: 0
; Occupancy: 16
; WaveLimiterHint : 1
; COMPUTE_PGM_RSRC2:SCRATCH_EN: 0
; COMPUTE_PGM_RSRC2:USER_SGPR: 2
; COMPUTE_PGM_RSRC2:TRAP_HANDLER: 0
; COMPUTE_PGM_RSRC2:TGID_X_EN: 1
; COMPUTE_PGM_RSRC2:TGID_Y_EN: 1
; COMPUTE_PGM_RSRC2:TGID_Z_EN: 1
; COMPUTE_PGM_RSRC2:TIDIG_COMP_CNT: 1
	.section	.text._ZN9rocsolver6v33100L18geqr2_kernel_smallILi256E19rocblas_complex_numIfEifPKPS3_EEvT1_S7_T3_lS7_lPT2_lPT0_l,"axG",@progbits,_ZN9rocsolver6v33100L18geqr2_kernel_smallILi256E19rocblas_complex_numIfEifPKPS3_EEvT1_S7_T3_lS7_lPT2_lPT0_l,comdat
	.globl	_ZN9rocsolver6v33100L18geqr2_kernel_smallILi256E19rocblas_complex_numIfEifPKPS3_EEvT1_S7_T3_lS7_lPT2_lPT0_l ; -- Begin function _ZN9rocsolver6v33100L18geqr2_kernel_smallILi256E19rocblas_complex_numIfEifPKPS3_EEvT1_S7_T3_lS7_lPT2_lPT0_l
	.p2align	8
	.type	_ZN9rocsolver6v33100L18geqr2_kernel_smallILi256E19rocblas_complex_numIfEifPKPS3_EEvT1_S7_T3_lS7_lPT2_lPT0_l,@function
_ZN9rocsolver6v33100L18geqr2_kernel_smallILi256E19rocblas_complex_numIfEifPKPS3_EEvT1_S7_T3_lS7_lPT2_lPT0_l: ; @_ZN9rocsolver6v33100L18geqr2_kernel_smallILi256E19rocblas_complex_numIfEifPKPS3_EEvT1_S7_T3_lS7_lPT2_lPT0_l
; %bb.0:
	s_clause 0x1
	s_load_b128 s[4:7], s[0:1], 0x8
	s_load_b64 s[12:13], s[0:1], 0x0
	s_bfe_u32 s2, ttmp6, 0x40014
	s_lshr_b32 s3, ttmp7, 16
	s_add_co_i32 s2, s2, 1
	s_bfe_u32 s8, ttmp6, 0x40008
	s_mul_i32 s2, s3, s2
	s_getreg_b32 s9, hwreg(HW_REG_IB_STS2, 6, 4)
	s_add_co_i32 s8, s8, s2
	s_cmp_eq_u32 s9, 0
	v_and_b32_e32 v1, 0x7f, v0
	s_cselect_b32 s18, s3, s8
	v_lshrrev_b32_e32 v8, 7, v0
	s_mov_b32 s19, 0
	s_wait_kmcnt 0x0
	s_load_b64 s[8:9], s[4:5], s18 offset:0x0 scale_offset
	s_load_b32 s20, s[0:1], 0x18
	v_cmp_gt_i32_e64 s2, s12, v1
	v_lshlrev_b32_e32 v9, 3, v1
	s_wait_xcnt 0x0
	s_lshl_b64 s[4:5], s[6:7], 3
	s_wait_kmcnt 0x0
	s_add_nc_u64 s[14:15], s[8:9], s[4:5]
	s_and_saveexec_b32 s4, s2
	s_cbranch_execz .LBB45_6
; %bb.1:
	v_dual_mov_b32 v5, v1 :: v_dual_lshrrev_b32 v2, 7, v0
	s_lshl_b32 s5, s12, 4
	s_lshl_b32 s6, s20, 1
	s_mov_b32 s7, s19
	s_delay_alu instid0(VALU_DEP_1) | instskip(SKIP_2) | instid1(VALU_DEP_3)
	v_mul_lo_u32 v4, s12, v2
	v_mad_u32 v3, s20, v2, v1
	v_cmp_gt_i32_e32 vcc_lo, s13, v2
	v_lshlrev_b32_e32 v4, 3, v4
	s_delay_alu instid0(VALU_DEP_1)
	v_add3_u32 v4, v4, v9, 0
	s_branch .LBB45_3
.LBB45_2:                               ;   in Loop: Header=BB45_3 Depth=1
	s_or_b32 exec_lo, exec_lo, s8
	v_add_nc_u32_e32 v5, 0x80, v5
	v_add_nc_u32_e32 v4, 0x400, v4
	;; [unrolled: 1-line block ×3, first 2 shown]
	s_delay_alu instid0(VALU_DEP_3) | instskip(SKIP_1) | instid1(SALU_CYCLE_1)
	v_cmp_le_i32_e64 s3, s12, v5
	s_or_b32 s7, s3, s7
	s_and_not1_b32 exec_lo, exec_lo, s7
	s_cbranch_execz .LBB45_6
.LBB45_3:                               ; =>This Loop Header: Depth=1
                                        ;     Child Loop BB45_5 Depth 2
	s_and_saveexec_b32 s8, vcc_lo
	s_cbranch_execz .LBB45_2
; %bb.4:                                ;   in Loop: Header=BB45_3 Depth=1
	s_delay_alu instid0(VALU_DEP_1)
	v_dual_mov_b32 v6, v3 :: v_dual_mov_b32 v7, v4
	v_mov_b32_e32 v10, v2
	s_mov_b32 s9, 0
.LBB45_5:                               ;   Parent Loop BB45_3 Depth=1
                                        ; =>  This Inner Loop Header: Depth=2
	flat_load_b64 v[12:13], v6, s[14:15] scale_offset
	v_add_nc_u32_e32 v10, 2, v10
	s_wait_xcnt 0x0
	v_add_nc_u32_e32 v6, s6, v6
	s_wait_loadcnt_dscnt 0x0
	ds_store_b64 v7, v[12:13]
	v_add_nc_u32_e32 v7, s5, v7
	v_cmp_le_i32_e64 s3, s13, v10
	s_or_b32 s9, s3, s9
	s_delay_alu instid0(SALU_CYCLE_1)
	s_and_not1_b32 exec_lo, exec_lo, s9
	s_cbranch_execnz .LBB45_5
	s_branch .LBB45_2
.LBB45_6:
	s_or_b32 exec_lo, exec_lo, s4
	s_min_i32 s21, s13, s12
	s_wait_dscnt 0x0
	s_cmp_lt_i32 s21, 1
	s_barrier_signal -1
	s_barrier_wait -1
	s_cbranch_scc1 .LBB45_46
; %bb.7:
	v_mbcnt_lo_u32_b32 v2, -1, 0
	s_load_b256 s[4:11], s[0:1], 0x28
	s_wait_xcnt 0x0
	s_mul_i32 s0, s13, s12
	s_lshl_b32 s1, s13, 3
	s_lshl_b32 s0, s0, 3
	v_cmp_ne_u32_e32 vcc_lo, 31, v2
	s_add_co_i32 s22, s0, 0
	v_lshl_or_b32 v14, v2, 2, 64
	s_add_co_i32 s23, s22, s1
	v_mov_b32_e32 v20, 1.0
	v_add_co_ci_u32_e64 v3, null, 0, v2, vcc_lo
	v_cmp_gt_u32_e32 vcc_lo, 30, v2
	s_mov_b32 s17, 0
	s_mov_b32 s27, 0
	s_delay_alu instid0(VALU_DEP_2)
	v_dual_lshlrev_b32 v10, 2, v3 :: v_dual_bitop2_b32 v3, 31, v0 bitop3:0x40
	v_cndmask_b32_e64 v4, 0, 2, vcc_lo
	v_cmp_gt_u32_e32 vcc_lo, 28, v2
	s_mov_b32 s28, s13
	s_mov_b32 s29, s12
	s_wait_kmcnt 0x0
	s_mul_u64 s[0:1], s[6:7], s[18:19]
	v_add_lshl_u32 v11, v4, v2, 2
	v_cndmask_b32_e64 v5, 0, 4, vcc_lo
	v_cmp_gt_u32_e32 vcc_lo, 24, v2
	v_mad_u32 v4, s12, v0, s12
	s_mul_u64 s[6:7], s[10:11], s[18:19]
	s_lshl_b64 s[0:1], s[0:1], 2
	s_lshl_b64 s[6:7], s[6:7], 3
	v_cndmask_b32_e64 v6, 0, 8, vcc_lo
	s_add_nc_u64 s[10:11], s[4:5], s[0:1]
	v_add_lshl_u32 v12, v5, v2, 2
	v_cmp_eq_u32_e64 s0, 0, v3
	v_lshlrev_b32_e32 v3, 3, v0
	v_add_lshl_u32 v13, v6, v2, 2
	v_lshrrev_b32_e32 v2, 2, v0
	s_cmp_lg_u64 s[4:5], 0
	s_add_nc_u64 s[8:9], s[8:9], s[6:7]
	s_cselect_b32 s7, -1, 0
	s_lshl_b32 s24, s12, 3
	v_add3_u32 v15, v3, 0, 8
	v_add3_u32 v17, 0, s24, v3
	v_dual_mov_b32 v19, 0 :: v_dual_add_nc_u32 v18, s23, v2
	v_mov_b64_e32 v[2:3], 0
	v_cmp_eq_u32_e64 s1, 0, v0
	v_lshl_add_u32 v16, v4, 3, 0
	s_add_co_i32 s25, s24, 8
	s_lshl_b32 s26, s12, 11
	s_mov_b32 s16, s17
	s_branch .LBB45_9
.LBB45_8:                               ;   in Loop: Header=BB45_9 Depth=1
	s_or_b32 exec_lo, exec_lo, s4
	v_dual_add_nc_u32 v15, s25, v15 :: v_dual_add_nc_u32 v16, s25, v16
	v_add_nc_u32_e32 v17, s25, v17
	s_add_co_i32 s16, s16, 1
	s_add_co_i32 s28, s28, -1
	s_add_co_i32 s29, s29, -1
	s_add_co_i32 s27, s27, s25
	s_cmp_eq_u32 s16, s21
	s_wait_dscnt 0x0
	s_barrier_signal -1
	s_barrier_wait -1
	s_cbranch_scc1 .LBB45_46
.LBB45_9:                               ; =>This Loop Header: Depth=1
                                        ;     Child Loop BB45_11 Depth 2
                                        ;     Child Loop BB45_31 Depth 2
	;; [unrolled: 1-line block ×3, first 2 shown]
                                        ;       Child Loop BB45_38 Depth 3
                                        ;     Child Loop BB45_42 Depth 2
                                        ;       Child Loop BB45_44 Depth 3
	s_sub_co_i32 s30, s12, s16
	v_dual_mov_b32 v4, 0 :: v_dual_mov_b32 v5, 0
	s_add_co_i32 s33, s30, -1
	s_delay_alu instid0(SALU_CYCLE_1)
	v_cmp_gt_i32_e64 s3, s33, v0
	s_and_saveexec_b32 s4, s3
	s_cbranch_execz .LBB45_13
; %bb.10:                               ;   in Loop: Header=BB45_9 Depth=1
	v_dual_mov_b32 v4, 0 :: v_dual_mov_b32 v6, v15
	v_dual_mov_b32 v7, v0 :: v_dual_mov_b32 v5, 0
	s_mov_b32 s5, 0
.LBB45_11:                              ;   Parent Loop BB45_9 Depth=1
                                        ; =>  This Inner Loop Header: Depth=2
	ds_load_b64 v[22:23], v6
	s_wait_dscnt 0x0
	v_dual_mul_f32 v21, v23, v23 :: v_dual_mul_f32 v24, v23, v22
	s_delay_alu instid0(VALU_DEP_1) | instskip(SKIP_1) | instid1(VALU_DEP_2)
	v_dual_fmac_f32 v21, v22, v22 :: v_dual_fma_f32 v22, v22, v23, -v24
	v_add_nc_u32_e32 v7, 0x100, v7
	v_dual_add_f32 v5, v5, v21 :: v_dual_add_nc_u32 v6, 0x800, v6
	s_delay_alu instid0(VALU_DEP_3) | instskip(NEXT) | instid1(VALU_DEP_3)
	v_add_f32_e32 v4, v4, v22
	v_cmp_le_i32_e32 vcc_lo, s33, v7
	s_or_b32 s5, vcc_lo, s5
	s_delay_alu instid0(SALU_CYCLE_1)
	s_and_not1_b32 exec_lo, exec_lo, s5
	s_cbranch_execnz .LBB45_11
; %bb.12:                               ;   in Loop: Header=BB45_9 Depth=1
	s_or_b32 exec_lo, exec_lo, s5
.LBB45_13:                              ;   in Loop: Header=BB45_9 Depth=1
	s_delay_alu instid0(SALU_CYCLE_1)
	s_or_b32 exec_lo, exec_lo, s4
	ds_bpermute_b32 v6, v10, v5
	ds_bpermute_b32 v7, v10, v4
	s_wait_dscnt 0x0
	v_dual_add_f32 v5, v5, v6 :: v_dual_add_f32 v4, v4, v7
	ds_bpermute_b32 v6, v11, v5
	ds_bpermute_b32 v7, v11, v4
	s_wait_dscnt 0x0
	v_dual_add_f32 v5, v5, v6 :: v_dual_add_f32 v4, v4, v7
	;; [unrolled: 4-line block ×4, first 2 shown]
	ds_bpermute_b32 v4, v14, v21
	ds_bpermute_b32 v6, v14, v5
	s_wait_dscnt 0x1
	v_add_f32_e32 v4, v21, v4
	s_and_saveexec_b32 s4, s0
	s_cbranch_execz .LBB45_15
; %bb.14:                               ;   in Loop: Header=BB45_9 Depth=1
	s_wait_dscnt 0x0
	v_add_f32_e32 v5, v5, v6
	ds_store_2addr_b32 v18, v4, v5 offset0:2 offset1:3
.LBB45_15:                              ;   in Loop: Header=BB45_9 Depth=1
	s_or_b32 exec_lo, exec_lo, s4
	s_lshl_b32 s4, s16, 3
	s_mul_i32 s5, s16, s12
	s_add_co_i32 s31, s4, 0
	s_lshl_b32 s4, s5, 3
	s_wait_dscnt 0x0
	s_add_co_i32 s31, s31, s4
	s_barrier_signal -1
	s_barrier_wait -1
	s_and_saveexec_b32 s34, s1
	s_cbranch_execz .LBB45_29
; %bb.16:                               ;   in Loop: Header=BB45_9 Depth=1
	v_mov_b32_e32 v21, s23
	s_lshl_b64 s[4:5], s[16:17], 2
	s_mov_b32 s35, 0
	s_add_nc_u64 s[18:19], s[10:11], s[4:5]
	s_mov_b32 s4, exec_lo
	ds_load_2addr_b32 v[6:7], v21 offset0:4 offset1:6
	ds_load_2addr_b32 v[22:23], v21 offset0:8 offset1:10
	s_wait_dscnt 0x1
	v_add_f32_e32 v6, v4, v6
	ds_load_2addr_b32 v[4:5], v21 offset0:12 offset1:14
	v_dual_add_f32 v6, v6, v7 :: v_dual_mov_b32 v7, s31
	s_wait_dscnt 0x1
	s_delay_alu instid0(VALU_DEP_1) | instskip(SKIP_4) | instid1(VALU_DEP_1)
	v_add_f32_e32 v22, v6, v22
	ds_load_b32 v21, v21 offset:64
	ds_load_b32 v6, v7 offset:4
	v_add_f32_e32 v7, v22, v23
	s_wait_dscnt 0x2
	v_add_f32_e32 v4, v7, v4
	s_delay_alu instid0(VALU_DEP_1) | instskip(SKIP_1) | instid1(VALU_DEP_1)
	v_add_f32_e32 v4, v4, v5
	s_wait_dscnt 0x0
	v_dual_add_f32 v21, v4, v21 :: v_dual_mul_f32 v7, v6, v6
	s_delay_alu instid0(VALU_DEP_1) | instskip(NEXT) | instid1(VALU_DEP_1)
	v_max_num_f32_e32 v4, v21, v7
	v_cmpx_nlt_f32_e32 0, v4
	s_xor_b32 s4, exec_lo, s4
	s_cbranch_execz .LBB45_21
; %bb.17:                               ;   in Loop: Header=BB45_9 Depth=1
	v_mov_b32_e32 v4, s23
	s_and_b32 vcc_lo, exec_lo, s7
	ds_store_b64 v4, v[2:3]
	s_cbranch_vccz .LBB45_19
; %bb.18:                               ;   in Loop: Header=BB45_9 Depth=1
	v_mov_b32_e32 v4, s31
	s_mov_b32 s5, -1
	ds_load_b32 v5, v4
	ds_store_b32 v4, v20
	s_wait_dscnt 0x1
	global_store_b32 v19, v5, s[18:19]
	s_branch .LBB45_20
.LBB45_19:                              ;   in Loop: Header=BB45_9 Depth=1
	s_mov_b32 s5, 0
.LBB45_20:                              ;   in Loop: Header=BB45_9 Depth=1
	s_delay_alu instid0(SALU_CYCLE_1)
	s_and_b32 s35, s5, exec_lo
                                        ; implicit-def: $vgpr7
                                        ; implicit-def: $vgpr21
                                        ; implicit-def: $vgpr6
.LBB45_21:                              ;   in Loop: Header=BB45_9 Depth=1
	s_wait_xcnt 0x0
	s_or_saveexec_b32 s36, s4
	v_dual_mov_b32 v4, 1.0 :: v_dual_mov_b32 v5, 0
	v_dual_mov_b32 v22, 0 :: v_dual_mov_b32 v23, 1.0
	s_xor_b32 exec_lo, exec_lo, s36
	s_cbranch_execz .LBB45_26
; %bb.22:                               ;   in Loop: Header=BB45_9 Depth=1
	v_mov_b32_e32 v22, s31
	ds_load_b32 v22, v22
	s_wait_dscnt 0x0
	v_fma_f32 v23, v22, v22, v7
	s_delay_alu instid0(VALU_DEP_1) | instskip(NEXT) | instid1(VALU_DEP_1)
	v_add_f32_e32 v21, v21, v23
	v_mul_f32_e32 v23, 0x4f800000, v21
	v_cmp_gt_f32_e32 vcc_lo, 0xf800000, v21
	s_delay_alu instid0(VALU_DEP_2) | instskip(NEXT) | instid1(VALU_DEP_1)
	v_cndmask_b32_e32 v21, v21, v23, vcc_lo
	v_sqrt_f32_e32 v23, v21
	v_nop
	s_delay_alu instid0(TRANS32_DEP_1) | instskip(NEXT) | instid1(VALU_DEP_1)
	v_dual_add_nc_u32 v24, -1, v23 :: v_dual_add_nc_u32 v25, 1, v23
	v_fma_f32 v26, -v24, v23, v21
	s_delay_alu instid0(VALU_DEP_1) | instskip(NEXT) | instid1(VALU_DEP_1)
	v_cmp_ge_f32_e64 s4, 0, v26
	v_dual_fma_f32 v27, -v25, v23, v21 :: v_dual_cndmask_b32 v23, v23, v24, s4
	s_delay_alu instid0(VALU_DEP_1) | instskip(NEXT) | instid1(VALU_DEP_1)
	v_cmp_lt_f32_e64 s4, 0, v27
	v_cndmask_b32_e64 v23, v23, v25, s4
	s_delay_alu instid0(VALU_DEP_1) | instskip(NEXT) | instid1(VALU_DEP_1)
	v_mul_f32_e32 v24, 0x37800000, v23
	v_cndmask_b32_e32 v23, v23, v24, vcc_lo
	v_cmp_class_f32_e64 vcc_lo, v21, 0x260
	s_delay_alu instid0(VALU_DEP_2) | instskip(SKIP_1) | instid1(VALU_DEP_2)
	v_cndmask_b32_e32 v21, v23, v21, vcc_lo
	v_cmp_le_f32_e32 vcc_lo, 0, v22
	v_cndmask_b32_e64 v21, v21, -v21, vcc_lo
	s_delay_alu instid0(VALU_DEP_1) | instskip(SKIP_2) | instid1(VALU_DEP_3)
	v_dual_sub_f32 v23, v22, v21 :: v_dual_sub_f32 v22, v21, v22
	v_div_scale_f32 v24, null, v21, v21, -v6
	v_div_scale_f32 v28, s4, -v6, v21, -v6
	v_fmac_f32_e32 v7, v23, v23
	s_delay_alu instid0(VALU_DEP_4) | instskip(NEXT) | instid1(VALU_DEP_4)
	v_div_scale_f32 v25, null, v21, v21, v22
	v_rcp_f32_e32 v29, v24
	v_div_scale_f32 v33, s5, v22, v21, v22
	s_delay_alu instid0(VALU_DEP_3) | instskip(NEXT) | instid1(VALU_DEP_3)
	v_div_scale_f32 v27, null, v7, v7, -v6
	v_rcp_f32_e32 v30, v25
	s_delay_alu instid0(TRANS32_DEP_2) | instskip(NEXT) | instid1(VALU_DEP_2)
	v_fma_f32 v35, -v24, v29, 1.0
	v_rcp_f32_e32 v32, v27
	s_delay_alu instid0(TRANS32_DEP_2) | instskip(NEXT) | instid1(TRANS32_DEP_1)
	v_fma_f32 v36, -v25, v30, 1.0
	v_fma_f32 v38, -v27, v32, 1.0
	s_delay_alu instid0(VALU_DEP_1) | instskip(SKIP_2) | instid1(VALU_DEP_2)
	v_dual_fmac_f32 v30, v36, v30 :: v_dual_fmac_f32 v32, v38, v32
	v_div_scale_f32 v26, null, v7, v7, v23
	v_div_scale_f32 v39, s6, -v6, v7, -v6
	v_rcp_f32_e32 v31, v26
	s_delay_alu instid0(VALU_DEP_1) | instskip(NEXT) | instid1(TRANS32_DEP_1)
	v_mul_f32_e32 v38, v39, v32
	v_fma_f32 v37, -v26, v31, 1.0
	s_delay_alu instid0(VALU_DEP_2) | instskip(NEXT) | instid1(VALU_DEP_2)
	v_fma_f32 v43, -v27, v38, v39
	v_fmac_f32_e32 v31, v37, v31
	v_mul_f32_e32 v37, v33, v30
	v_div_scale_f32 v34, vcc_lo, v23, v7, v23
	v_fmac_f32_e32 v29, v35, v29
	s_delay_alu instid0(VALU_DEP_3) | instskip(NEXT) | instid1(VALU_DEP_2)
	v_dual_fmac_f32 v38, v43, v32 :: v_dual_fma_f32 v42, -v25, v37, v33
	v_dual_mul_f32 v36, v34, v31 :: v_dual_mul_f32 v35, v28, v29
	s_delay_alu instid0(VALU_DEP_2) | instskip(NEXT) | instid1(VALU_DEP_3)
	v_fma_f32 v27, -v27, v38, v39
	v_fmac_f32_e32 v37, v42, v30
	s_delay_alu instid0(VALU_DEP_3) | instskip(NEXT) | instid1(VALU_DEP_2)
	v_dual_fma_f32 v41, -v26, v36, v34 :: v_dual_fma_f32 v40, -v24, v35, v28
	v_fma_f32 v25, -v25, v37, v33
	s_delay_alu instid0(VALU_DEP_2) | instskip(NEXT) | instid1(VALU_DEP_1)
	v_dual_fmac_f32 v36, v41, v31 :: v_dual_fmac_f32 v35, v40, v29
	v_dual_fma_f32 v26, -v26, v36, v34 :: v_dual_fma_f32 v24, -v24, v35, v28
	s_delay_alu instid0(VALU_DEP_1) | instskip(SKIP_3) | instid1(VALU_DEP_2)
	v_div_fmas_f32 v26, v26, v31, v36
	s_mov_b32 vcc_lo, s6
	v_div_fmas_f32 v27, v27, v32, v38
	s_mov_b32 vcc_lo, s5
	v_div_fixup_f32 v23, v26, v7, v23
	v_div_fmas_f32 v25, v25, v30, v37
	s_mov_b32 vcc_lo, s4
	v_div_fmas_f32 v28, v24, v29, v35
	v_mov_b32_e32 v29, s23
	s_delay_alu instid0(VALU_DEP_3)
	v_div_fixup_f32 v24, v25, v21, v22
	v_div_fixup_f32 v22, v27, v7, -v6
	s_and_b32 vcc_lo, exec_lo, s7
	v_div_fixup_f32 v25, v28, v21, -v6
	ds_store_b64 v29, v[24:25]
	s_cbranch_vccz .LBB45_45
; %bb.23:                               ;   in Loop: Header=BB45_9 Depth=1
	v_mov_b32_e32 v6, s31
	global_store_b32 v19, v21, s[18:19]
	ds_store_b32 v6, v20
	s_cbranch_execnz .LBB45_25
.LBB45_24:                              ;   in Loop: Header=BB45_9 Depth=1
	v_mov_b32_e32 v6, s31
	ds_store_b32 v6, v21
.LBB45_25:                              ;   in Loop: Header=BB45_9 Depth=1
	s_or_b32 s35, s35, exec_lo
.LBB45_26:                              ;   in Loop: Header=BB45_9 Depth=1
	s_wait_xcnt 0x0
	s_or_b32 exec_lo, exec_lo, s36
	v_mov_b64_e32 v[6:7], 0
	s_and_saveexec_b32 s4, s35
	s_cbranch_execz .LBB45_28
; %bb.27:                               ;   in Loop: Header=BB45_9 Depth=1
	v_dual_mov_b32 v4, s31 :: v_dual_mov_b32 v5, s23
	ds_store_b32 v4, v19 offset:4
	ds_load_b64 v[6:7], v5
	v_dual_mov_b32 v4, v23 :: v_dual_mov_b32 v5, v22
.LBB45_28:                              ;   in Loop: Header=BB45_9 Depth=1
	s_or_b32 exec_lo, exec_lo, s4
	s_lshl_b64 s[4:5], s[16:17], 3
	v_mov_b32_e32 v21, s23
	s_add_nc_u64 s[4:5], s[8:9], s[4:5]
	s_wait_dscnt 0x0
	global_store_b64 v19, v[6:7], s[4:5]
	s_wait_xcnt 0x0
	v_xor_b32_e32 v7, 0x80000000, v7
	ds_store_2addr_b64 v21, v[6:7], v[4:5] offset1:1
.LBB45_29:                              ;   in Loop: Header=BB45_9 Depth=1
	s_or_b32 exec_lo, exec_lo, s34
	s_wait_storecnt_dscnt 0x0
	s_barrier_signal -1
	s_barrier_wait -1
	s_and_saveexec_b32 s4, s3
	s_cbranch_execz .LBB45_32
; %bb.30:                               ;   in Loop: Header=BB45_9 Depth=1
	v_mov_b32_e32 v4, v0
	s_mov_b32 s3, 0
	s_mov_b32 s5, 0
.LBB45_31:                              ;   Parent Loop BB45_9 Depth=1
                                        ; =>  This Inner Loop Header: Depth=2
	s_delay_alu instid0(SALU_CYCLE_1)
	v_dual_add_nc_u32 v5, s5, v15 :: v_dual_mov_b32 v21, s23
	s_addk_co_i32 s5, 0x800
	ds_load_b64 v[6:7], v5
	ds_load_b64 v[22:23], v21 offset:8
	s_wait_dscnt 0x0
	v_pk_mul_f32 v[24:25], v[22:23], v[6:7] op_sel:[1,1] op_sel_hi:[0,1]
	s_delay_alu instid0(VALU_DEP_1) | instskip(SKIP_2) | instid1(VALU_DEP_3)
	v_pk_fma_f32 v[26:27], v[22:23], v[6:7], v[24:25] op_sel_hi:[1,0,1]
	v_add_nc_u32_e32 v4, 0x100, v4
	v_pk_fma_f32 v[6:7], v[22:23], v[6:7], v[24:25] neg_lo:[0,0,1] neg_hi:[0,0,1]
	v_mov_b32_e32 v7, v27
	s_delay_alu instid0(VALU_DEP_3) | instskip(SKIP_2) | instid1(SALU_CYCLE_1)
	v_cmp_le_i32_e32 vcc_lo, s33, v4
	ds_store_b64 v5, v[6:7]
	s_or_b32 s3, vcc_lo, s3
	s_and_not1_b32 exec_lo, exec_lo, s3
	s_cbranch_execnz .LBB45_31
.LBB45_32:                              ;   in Loop: Header=BB45_9 Depth=1
	s_or_b32 exec_lo, exec_lo, s4
	s_not_b32 s3, s16
	s_mov_b32 s4, exec_lo
	s_add_co_i32 s3, s13, s3
	s_wait_dscnt 0x0
	s_barrier_signal -1
	s_barrier_wait -1
	v_cmpx_gt_i32_e64 s3, v0
	s_cbranch_execz .LBB45_39
; %bb.33:                               ;   in Loop: Header=BB45_9 Depth=1
	v_dual_mov_b32 v6, v16 :: v_dual_mov_b32 v7, v0
	s_cmp_gt_i32 s30, 0
	s_mov_b32 s5, 0
	s_cselect_b32 s6, -1, 0
	s_branch .LBB45_36
.LBB45_34:                              ;   in Loop: Header=BB45_36 Depth=2
	v_mov_b32_e32 v5, 0
	s_delay_alu instid0(VALU_DEP_1)
	v_mov_b32_e32 v4, v5
.LBB45_35:                              ;   in Loop: Header=BB45_36 Depth=2
	s_delay_alu instid0(VALU_DEP_1) | instskip(NEXT) | instid1(VALU_DEP_2)
	v_dual_mov_b32 v21, s23 :: v_dual_mov_b32 v24, v5
	v_dual_mov_b32 v25, v4 :: v_dual_add_nc_u32 v6, s26, v6
	ds_load_b64 v[22:23], v21
	v_lshl_add_u32 v21, v7, 3, s22
	v_add_nc_u32_e32 v7, 0x100, v7
	s_delay_alu instid0(VALU_DEP_1) | instskip(SKIP_3) | instid1(VALU_DEP_1)
	v_cmp_le_i32_e32 vcc_lo, s3, v7
	s_or_b32 s5, vcc_lo, s5
	s_wait_dscnt 0x0
	v_pk_mul_f32 v[24:25], v[24:25], v[22:23] op_sel:[0,1]
	v_pk_fma_f32 v[26:27], v[4:5], v[22:23], v[24:25] op_sel_hi:[1,0,1]
	v_pk_fma_f32 v[4:5], v[4:5], v[22:23], v[24:25] neg_lo:[0,0,1] neg_hi:[0,0,1]
	s_delay_alu instid0(VALU_DEP_2)
	v_mov_b32_e32 v5, v27
	ds_store_b64 v21, v[4:5]
	s_and_not1_b32 exec_lo, exec_lo, s5
	s_cbranch_execz .LBB45_39
.LBB45_36:                              ;   Parent Loop BB45_9 Depth=1
                                        ; =>  This Loop Header: Depth=2
                                        ;       Child Loop BB45_38 Depth 3
	s_and_not1_b32 vcc_lo, exec_lo, s6
	s_cbranch_vccnz .LBB45_34
; %bb.37:                               ;   in Loop: Header=BB45_36 Depth=2
	v_dual_mov_b32 v4, 0 :: v_dual_mov_b32 v21, v6
	s_mov_b32 s18, s27
	s_mov_b32 s19, s29
	s_delay_alu instid0(VALU_DEP_1)
	v_mov_b32_e32 v5, v4
.LBB45_38:                              ;   Parent Loop BB45_9 Depth=1
                                        ;     Parent Loop BB45_36 Depth=2
                                        ; =>    This Inner Loop Header: Depth=3
	v_mov_b32_e32 v24, s18
	s_add_co_i32 s19, s19, -1
	s_add_co_i32 s18, s18, 8
	s_cmp_eq_u32 s19, 0
	ds_load_b64 v[22:23], v21
	ds_load_b64 v[24:25], v24
	s_wait_dscnt 0x1
	v_dual_mov_b32 v28, v23 :: v_dual_add_nc_u32 v21, 8, v21
	s_wait_dscnt 0x0
	v_pk_mul_f32 v[26:27], v[24:25], v[22:23] op_sel_hi:[1,0]
	s_delay_alu instid0(VALU_DEP_1) | instskip(NEXT) | instid1(VALU_DEP_3)
	v_pk_fma_f32 v[22:23], v[24:25], v[22:23], v[26:27] op_sel:[1,1,0] op_sel_hi:[0,1,1] neg_lo:[0,0,1] neg_hi:[0,0,1]
	v_pk_fma_f32 v[24:25], v[24:25], v[28:29], v[26:27] op_sel:[1,0,0] op_sel_hi:[0,1,1]
	s_delay_alu instid0(VALU_DEP_2) | instskip(NEXT) | instid1(VALU_DEP_1)
	v_mov_b32_e32 v25, v23
	v_pk_add_f32 v[4:5], v[4:5], v[24:25]
	s_cbranch_scc0 .LBB45_38
	s_branch .LBB45_35
.LBB45_39:                              ;   in Loop: Header=BB45_9 Depth=1
	s_or_b32 exec_lo, exec_lo, s4
	s_delay_alu instid0(SALU_CYCLE_1)
	s_mov_b32 s4, exec_lo
	s_wait_dscnt 0x0
	s_barrier_signal -1
	s_barrier_wait -1
	v_cmpx_gt_i32_e64 s30, v0
	s_cbranch_execz .LBB45_8
; %bb.40:                               ;   in Loop: Header=BB45_9 Depth=1
	v_dual_mov_b32 v4, v17 :: v_dual_mov_b32 v5, v0
	s_cmp_gt_i32 s3, 0
	s_mov_b32 s3, 0
	s_cselect_b32 s5, -1, 0
	s_branch .LBB45_42
.LBB45_41:                              ;   in Loop: Header=BB45_42 Depth=2
	v_add_nc_u32_e32 v5, 0x100, v5
	v_add_nc_u32_e32 v4, 0x800, v4
	s_delay_alu instid0(VALU_DEP_2) | instskip(SKIP_1) | instid1(SALU_CYCLE_1)
	v_cmp_le_i32_e32 vcc_lo, s30, v5
	s_or_b32 s3, vcc_lo, s3
	s_and_not1_b32 exec_lo, exec_lo, s3
	s_cbranch_execz .LBB45_8
.LBB45_42:                              ;   Parent Loop BB45_9 Depth=1
                                        ; =>  This Loop Header: Depth=2
                                        ;       Child Loop BB45_44 Depth 3
	s_and_not1_b32 vcc_lo, exec_lo, s5
	s_cbranch_vccnz .LBB45_41
; %bb.43:                               ;   in Loop: Header=BB45_42 Depth=2
	v_lshl_add_u32 v6, v5, 3, s31
	v_mov_b32_e32 v7, v4
	s_mov_b32 s6, 1
	s_mov_b32 s18, s22
.LBB45_44:                              ;   Parent Loop BB45_9 Depth=1
                                        ;     Parent Loop BB45_42 Depth=2
                                        ; =>    This Inner Loop Header: Depth=3
	s_delay_alu instid0(SALU_CYCLE_1)
	v_mov_b32_e32 v21, s18
	s_add_co_i32 s6, s6, 1
	s_add_co_i32 s18, s18, 8
	s_cmp_eq_u32 s28, s6
	ds_load_b64 v[22:23], v6
	ds_load_b64 v[24:25], v21
	;; [unrolled: 1-line block ×3, first 2 shown]
	s_wait_dscnt 0x1
	v_pk_mul_f32 v[28:29], v[24:25], v[22:23] op_sel:[1,1] op_sel_hi:[0,1]
	s_delay_alu instid0(VALU_DEP_1) | instskip(SKIP_1) | instid1(VALU_DEP_2)
	v_pk_fma_f32 v[30:31], v[24:25], v[22:23], v[28:29] op_sel_hi:[1,0,1]
	v_pk_fma_f32 v[22:23], v[24:25], v[22:23], v[28:29] neg_lo:[0,0,1] neg_hi:[0,0,1]
	v_mov_b32_e32 v23, v31
	s_wait_dscnt 0x0
	s_delay_alu instid0(VALU_DEP_1)
	v_pk_add_f32 v[22:23], v[26:27], v[22:23] neg_lo:[0,1] neg_hi:[0,1]
	ds_store_b64 v7, v[22:23]
	v_add_nc_u32_e32 v7, s24, v7
	s_cbranch_scc0 .LBB45_44
	s_branch .LBB45_41
.LBB45_45:                              ;   in Loop: Header=BB45_9 Depth=1
	s_branch .LBB45_24
.LBB45_46:
	s_and_saveexec_b32 s0, s2
	s_cbranch_execz .LBB45_52
; %bb.47:
	v_mul_lo_u32 v2, s12, v8
	v_mad_u32 v0, s20, v8, v1
	s_lshl_b32 s1, s20, 1
	s_mov_b32 s2, 0
	s_lshl_b32 s3, s12, 4
	v_cmp_gt_i32_e32 vcc_lo, s13, v8
	s_delay_alu instid0(VALU_DEP_3) | instskip(NEXT) | instid1(VALU_DEP_1)
	v_lshlrev_b32_e32 v2, 3, v2
	v_add3_u32 v2, v2, v9, 0
	s_branch .LBB45_49
.LBB45_48:                              ;   in Loop: Header=BB45_49 Depth=1
	s_or_b32 exec_lo, exec_lo, s4
	v_add_nc_u32_e32 v1, 0x80, v1
	v_add_nc_u32_e32 v0, 0x80, v0
	;; [unrolled: 1-line block ×3, first 2 shown]
	s_delay_alu instid0(VALU_DEP_3) | instskip(SKIP_1) | instid1(SALU_CYCLE_1)
	v_cmp_le_i32_e64 s0, s12, v1
	s_or_b32 s2, s0, s2
	s_and_not1_b32 exec_lo, exec_lo, s2
	s_cbranch_execz .LBB45_52
.LBB45_49:                              ; =>This Loop Header: Depth=1
                                        ;     Child Loop BB45_51 Depth 2
	s_and_saveexec_b32 s4, vcc_lo
	s_cbranch_execz .LBB45_48
; %bb.50:                               ;   in Loop: Header=BB45_49 Depth=1
	s_delay_alu instid0(VALU_DEP_1)
	v_dual_mov_b32 v3, v2 :: v_dual_mov_b32 v4, v0
	v_mov_b32_e32 v5, v8
	s_mov_b32 s5, 0
.LBB45_51:                              ;   Parent Loop BB45_49 Depth=1
                                        ; =>  This Inner Loop Header: Depth=2
	ds_load_b64 v[6:7], v3
	v_dual_add_nc_u32 v5, 2, v5 :: v_dual_add_nc_u32 v3, s3, v3
	s_delay_alu instid0(VALU_DEP_1)
	v_cmp_le_i32_e64 s0, s13, v5
	s_or_b32 s5, s0, s5
	s_wait_dscnt 0x0
	flat_store_b64 v4, v[6:7], s[14:15] scale_offset
	s_wait_xcnt 0x0
	v_add_nc_u32_e32 v4, s1, v4
	s_and_not1_b32 exec_lo, exec_lo, s5
	s_cbranch_execnz .LBB45_51
	s_branch .LBB45_48
.LBB45_52:
	s_endpgm
	.section	.rodata,"a",@progbits
	.p2align	6, 0x0
	.amdhsa_kernel _ZN9rocsolver6v33100L18geqr2_kernel_smallILi256E19rocblas_complex_numIfEifPKPS3_EEvT1_S7_T3_lS7_lPT2_lPT0_l
		.amdhsa_group_segment_fixed_size 0
		.amdhsa_private_segment_fixed_size 0
		.amdhsa_kernarg_size 72
		.amdhsa_user_sgpr_count 2
		.amdhsa_user_sgpr_dispatch_ptr 0
		.amdhsa_user_sgpr_queue_ptr 0
		.amdhsa_user_sgpr_kernarg_segment_ptr 1
		.amdhsa_user_sgpr_dispatch_id 0
		.amdhsa_user_sgpr_kernarg_preload_length 0
		.amdhsa_user_sgpr_kernarg_preload_offset 0
		.amdhsa_user_sgpr_private_segment_size 0
		.amdhsa_wavefront_size32 1
		.amdhsa_uses_dynamic_stack 0
		.amdhsa_enable_private_segment 0
		.amdhsa_system_sgpr_workgroup_id_x 1
		.amdhsa_system_sgpr_workgroup_id_y 0
		.amdhsa_system_sgpr_workgroup_id_z 1
		.amdhsa_system_sgpr_workgroup_info 0
		.amdhsa_system_vgpr_workitem_id 0
		.amdhsa_next_free_vgpr 44
		.amdhsa_next_free_sgpr 37
		.amdhsa_named_barrier_count 0
		.amdhsa_reserve_vcc 1
		.amdhsa_float_round_mode_32 0
		.amdhsa_float_round_mode_16_64 0
		.amdhsa_float_denorm_mode_32 3
		.amdhsa_float_denorm_mode_16_64 3
		.amdhsa_fp16_overflow 0
		.amdhsa_memory_ordered 1
		.amdhsa_forward_progress 1
		.amdhsa_inst_pref_size 24
		.amdhsa_round_robin_scheduling 0
		.amdhsa_exception_fp_ieee_invalid_op 0
		.amdhsa_exception_fp_denorm_src 0
		.amdhsa_exception_fp_ieee_div_zero 0
		.amdhsa_exception_fp_ieee_overflow 0
		.amdhsa_exception_fp_ieee_underflow 0
		.amdhsa_exception_fp_ieee_inexact 0
		.amdhsa_exception_int_div_zero 0
	.end_amdhsa_kernel
	.section	.text._ZN9rocsolver6v33100L18geqr2_kernel_smallILi256E19rocblas_complex_numIfEifPKPS3_EEvT1_S7_T3_lS7_lPT2_lPT0_l,"axG",@progbits,_ZN9rocsolver6v33100L18geqr2_kernel_smallILi256E19rocblas_complex_numIfEifPKPS3_EEvT1_S7_T3_lS7_lPT2_lPT0_l,comdat
.Lfunc_end45:
	.size	_ZN9rocsolver6v33100L18geqr2_kernel_smallILi256E19rocblas_complex_numIfEifPKPS3_EEvT1_S7_T3_lS7_lPT2_lPT0_l, .Lfunc_end45-_ZN9rocsolver6v33100L18geqr2_kernel_smallILi256E19rocblas_complex_numIfEifPKPS3_EEvT1_S7_T3_lS7_lPT2_lPT0_l
                                        ; -- End function
	.set _ZN9rocsolver6v33100L18geqr2_kernel_smallILi256E19rocblas_complex_numIfEifPKPS3_EEvT1_S7_T3_lS7_lPT2_lPT0_l.num_vgpr, 44
	.set _ZN9rocsolver6v33100L18geqr2_kernel_smallILi256E19rocblas_complex_numIfEifPKPS3_EEvT1_S7_T3_lS7_lPT2_lPT0_l.num_agpr, 0
	.set _ZN9rocsolver6v33100L18geqr2_kernel_smallILi256E19rocblas_complex_numIfEifPKPS3_EEvT1_S7_T3_lS7_lPT2_lPT0_l.numbered_sgpr, 37
	.set _ZN9rocsolver6v33100L18geqr2_kernel_smallILi256E19rocblas_complex_numIfEifPKPS3_EEvT1_S7_T3_lS7_lPT2_lPT0_l.num_named_barrier, 0
	.set _ZN9rocsolver6v33100L18geqr2_kernel_smallILi256E19rocblas_complex_numIfEifPKPS3_EEvT1_S7_T3_lS7_lPT2_lPT0_l.private_seg_size, 0
	.set _ZN9rocsolver6v33100L18geqr2_kernel_smallILi256E19rocblas_complex_numIfEifPKPS3_EEvT1_S7_T3_lS7_lPT2_lPT0_l.uses_vcc, 1
	.set _ZN9rocsolver6v33100L18geqr2_kernel_smallILi256E19rocblas_complex_numIfEifPKPS3_EEvT1_S7_T3_lS7_lPT2_lPT0_l.uses_flat_scratch, 0
	.set _ZN9rocsolver6v33100L18geqr2_kernel_smallILi256E19rocblas_complex_numIfEifPKPS3_EEvT1_S7_T3_lS7_lPT2_lPT0_l.has_dyn_sized_stack, 0
	.set _ZN9rocsolver6v33100L18geqr2_kernel_smallILi256E19rocblas_complex_numIfEifPKPS3_EEvT1_S7_T3_lS7_lPT2_lPT0_l.has_recursion, 0
	.set _ZN9rocsolver6v33100L18geqr2_kernel_smallILi256E19rocblas_complex_numIfEifPKPS3_EEvT1_S7_T3_lS7_lPT2_lPT0_l.has_indirect_call, 0
	.section	.AMDGPU.csdata,"",@progbits
; Kernel info:
; codeLenInByte = 2964
; TotalNumSgprs: 39
; NumVgprs: 44
; ScratchSize: 0
; MemoryBound: 0
; FloatMode: 240
; IeeeMode: 1
; LDSByteSize: 0 bytes/workgroup (compile time only)
; SGPRBlocks: 0
; VGPRBlocks: 2
; NumSGPRsForWavesPerEU: 39
; NumVGPRsForWavesPerEU: 44
; NamedBarCnt: 0
; Occupancy: 16
; WaveLimiterHint : 1
; COMPUTE_PGM_RSRC2:SCRATCH_EN: 0
; COMPUTE_PGM_RSRC2:USER_SGPR: 2
; COMPUTE_PGM_RSRC2:TRAP_HANDLER: 0
; COMPUTE_PGM_RSRC2:TGID_X_EN: 1
; COMPUTE_PGM_RSRC2:TGID_Y_EN: 0
; COMPUTE_PGM_RSRC2:TGID_Z_EN: 1
; COMPUTE_PGM_RSRC2:TIDIG_COMP_CNT: 0
	.section	.text._ZN9rocsolver6v33100L16reset_batch_infoI19rocblas_complex_numIfEiiPS3_EEvT2_lT0_T1_,"axG",@progbits,_ZN9rocsolver6v33100L16reset_batch_infoI19rocblas_complex_numIfEiiPS3_EEvT2_lT0_T1_,comdat
	.globl	_ZN9rocsolver6v33100L16reset_batch_infoI19rocblas_complex_numIfEiiPS3_EEvT2_lT0_T1_ ; -- Begin function _ZN9rocsolver6v33100L16reset_batch_infoI19rocblas_complex_numIfEiiPS3_EEvT2_lT0_T1_
	.p2align	8
	.type	_ZN9rocsolver6v33100L16reset_batch_infoI19rocblas_complex_numIfEiiPS3_EEvT2_lT0_T1_,@function
_ZN9rocsolver6v33100L16reset_batch_infoI19rocblas_complex_numIfEiiPS3_EEvT2_lT0_T1_: ; @_ZN9rocsolver6v33100L16reset_batch_infoI19rocblas_complex_numIfEiiPS3_EEvT2_lT0_T1_
; %bb.0:
	s_clause 0x1
	s_load_b32 s5, s[0:1], 0x24
	s_load_b64 s[2:3], s[0:1], 0x10
	s_bfe_u32 s4, ttmp6, 0x4000c
	s_and_b32 s6, ttmp6, 15
	s_add_co_i32 s7, s4, 1
	s_getreg_b32 s4, hwreg(HW_REG_IB_STS2, 6, 4)
	s_mul_i32 s7, ttmp9, s7
	s_delay_alu instid0(SALU_CYCLE_1) | instskip(SKIP_4) | instid1(SALU_CYCLE_1)
	s_add_co_i32 s6, s6, s7
	s_wait_kmcnt 0x0
	s_and_b32 s5, s5, 0xffff
	s_cmp_eq_u32 s4, 0
	s_cselect_b32 s6, ttmp9, s6
	v_mad_u32 v0, s6, s5, v0
	s_delay_alu instid0(VALU_DEP_1)
	v_cmp_gt_i32_e32 vcc_lo, s2, v0
	s_and_saveexec_b32 s2, vcc_lo
	s_cbranch_execz .LBB46_2
; %bb.1:
	s_load_b128 s[8:11], s[0:1], 0x0
	s_wait_xcnt 0x0
	s_bfe_u32 s0, ttmp6, 0x40010
	s_bfe_u32 s1, ttmp6, 0x40004
	s_add_co_i32 s0, s0, 1
	s_cvt_f32_i32 s2, s3
	s_mul_i32 s0, ttmp7, s0
	v_mov_b32_e32 v3, 0
	s_add_co_i32 s1, s1, s0
	s_cmp_eq_u32 s4, 0
	v_mov_b32_e32 v2, s2
	s_cselect_b32 s0, ttmp7, s1
	s_delay_alu instid0(SALU_CYCLE_1) | instskip(SKIP_2) | instid1(SALU_CYCLE_1)
	s_ashr_i32 s1, s0, 31
	s_wait_kmcnt 0x0
	s_mul_u64 s[0:1], s[10:11], s[0:1]
	s_lshl_b64 s[0:1], s[0:1], 3
	s_delay_alu instid0(SALU_CYCLE_1)
	s_add_nc_u64 s[0:1], s[8:9], s[0:1]
	global_store_b64 v0, v[2:3], s[0:1] scale_offset
.LBB46_2:
	s_endpgm
	.section	.rodata,"a",@progbits
	.p2align	6, 0x0
	.amdhsa_kernel _ZN9rocsolver6v33100L16reset_batch_infoI19rocblas_complex_numIfEiiPS3_EEvT2_lT0_T1_
		.amdhsa_group_segment_fixed_size 0
		.amdhsa_private_segment_fixed_size 0
		.amdhsa_kernarg_size 280
		.amdhsa_user_sgpr_count 2
		.amdhsa_user_sgpr_dispatch_ptr 0
		.amdhsa_user_sgpr_queue_ptr 0
		.amdhsa_user_sgpr_kernarg_segment_ptr 1
		.amdhsa_user_sgpr_dispatch_id 0
		.amdhsa_user_sgpr_kernarg_preload_length 0
		.amdhsa_user_sgpr_kernarg_preload_offset 0
		.amdhsa_user_sgpr_private_segment_size 0
		.amdhsa_wavefront_size32 1
		.amdhsa_uses_dynamic_stack 0
		.amdhsa_enable_private_segment 0
		.amdhsa_system_sgpr_workgroup_id_x 1
		.amdhsa_system_sgpr_workgroup_id_y 1
		.amdhsa_system_sgpr_workgroup_id_z 0
		.amdhsa_system_sgpr_workgroup_info 0
		.amdhsa_system_vgpr_workitem_id 0
		.amdhsa_next_free_vgpr 4
		.amdhsa_next_free_sgpr 12
		.amdhsa_named_barrier_count 0
		.amdhsa_reserve_vcc 1
		.amdhsa_float_round_mode_32 0
		.amdhsa_float_round_mode_16_64 0
		.amdhsa_float_denorm_mode_32 3
		.amdhsa_float_denorm_mode_16_64 3
		.amdhsa_fp16_overflow 0
		.amdhsa_memory_ordered 1
		.amdhsa_forward_progress 1
		.amdhsa_inst_pref_size 2
		.amdhsa_round_robin_scheduling 0
		.amdhsa_exception_fp_ieee_invalid_op 0
		.amdhsa_exception_fp_denorm_src 0
		.amdhsa_exception_fp_ieee_div_zero 0
		.amdhsa_exception_fp_ieee_overflow 0
		.amdhsa_exception_fp_ieee_underflow 0
		.amdhsa_exception_fp_ieee_inexact 0
		.amdhsa_exception_int_div_zero 0
	.end_amdhsa_kernel
	.section	.text._ZN9rocsolver6v33100L16reset_batch_infoI19rocblas_complex_numIfEiiPS3_EEvT2_lT0_T1_,"axG",@progbits,_ZN9rocsolver6v33100L16reset_batch_infoI19rocblas_complex_numIfEiiPS3_EEvT2_lT0_T1_,comdat
.Lfunc_end46:
	.size	_ZN9rocsolver6v33100L16reset_batch_infoI19rocblas_complex_numIfEiiPS3_EEvT2_lT0_T1_, .Lfunc_end46-_ZN9rocsolver6v33100L16reset_batch_infoI19rocblas_complex_numIfEiiPS3_EEvT2_lT0_T1_
                                        ; -- End function
	.set _ZN9rocsolver6v33100L16reset_batch_infoI19rocblas_complex_numIfEiiPS3_EEvT2_lT0_T1_.num_vgpr, 4
	.set _ZN9rocsolver6v33100L16reset_batch_infoI19rocblas_complex_numIfEiiPS3_EEvT2_lT0_T1_.num_agpr, 0
	.set _ZN9rocsolver6v33100L16reset_batch_infoI19rocblas_complex_numIfEiiPS3_EEvT2_lT0_T1_.numbered_sgpr, 12
	.set _ZN9rocsolver6v33100L16reset_batch_infoI19rocblas_complex_numIfEiiPS3_EEvT2_lT0_T1_.num_named_barrier, 0
	.set _ZN9rocsolver6v33100L16reset_batch_infoI19rocblas_complex_numIfEiiPS3_EEvT2_lT0_T1_.private_seg_size, 0
	.set _ZN9rocsolver6v33100L16reset_batch_infoI19rocblas_complex_numIfEiiPS3_EEvT2_lT0_T1_.uses_vcc, 1
	.set _ZN9rocsolver6v33100L16reset_batch_infoI19rocblas_complex_numIfEiiPS3_EEvT2_lT0_T1_.uses_flat_scratch, 0
	.set _ZN9rocsolver6v33100L16reset_batch_infoI19rocblas_complex_numIfEiiPS3_EEvT2_lT0_T1_.has_dyn_sized_stack, 0
	.set _ZN9rocsolver6v33100L16reset_batch_infoI19rocblas_complex_numIfEiiPS3_EEvT2_lT0_T1_.has_recursion, 0
	.set _ZN9rocsolver6v33100L16reset_batch_infoI19rocblas_complex_numIfEiiPS3_EEvT2_lT0_T1_.has_indirect_call, 0
	.section	.AMDGPU.csdata,"",@progbits
; Kernel info:
; codeLenInByte = 200
; TotalNumSgprs: 14
; NumVgprs: 4
; ScratchSize: 0
; MemoryBound: 0
; FloatMode: 240
; IeeeMode: 1
; LDSByteSize: 0 bytes/workgroup (compile time only)
; SGPRBlocks: 0
; VGPRBlocks: 0
; NumSGPRsForWavesPerEU: 14
; NumVGPRsForWavesPerEU: 4
; NamedBarCnt: 0
; Occupancy: 16
; WaveLimiterHint : 0
; COMPUTE_PGM_RSRC2:SCRATCH_EN: 0
; COMPUTE_PGM_RSRC2:USER_SGPR: 2
; COMPUTE_PGM_RSRC2:TRAP_HANDLER: 0
; COMPUTE_PGM_RSRC2:TGID_X_EN: 1
; COMPUTE_PGM_RSRC2:TGID_Y_EN: 1
; COMPUTE_PGM_RSRC2:TGID_Z_EN: 0
; COMPUTE_PGM_RSRC2:TIDIG_COMP_CNT: 0
	.section	.text._ZN9rocsolver6v33100L8set_diagI19rocblas_complex_numIfEifPKPS3_TnNSt9enable_ifIXaa18rocblas_is_complexIT_Ent18rocblas_is_complexIT1_EEiE4typeELi0EEEvPS9_llT2_lT0_lSE_b,"axG",@progbits,_ZN9rocsolver6v33100L8set_diagI19rocblas_complex_numIfEifPKPS3_TnNSt9enable_ifIXaa18rocblas_is_complexIT_Ent18rocblas_is_complexIT1_EEiE4typeELi0EEEvPS9_llT2_lT0_lSE_b,comdat
	.globl	_ZN9rocsolver6v33100L8set_diagI19rocblas_complex_numIfEifPKPS3_TnNSt9enable_ifIXaa18rocblas_is_complexIT_Ent18rocblas_is_complexIT1_EEiE4typeELi0EEEvPS9_llT2_lT0_lSE_b ; -- Begin function _ZN9rocsolver6v33100L8set_diagI19rocblas_complex_numIfEifPKPS3_TnNSt9enable_ifIXaa18rocblas_is_complexIT_Ent18rocblas_is_complexIT1_EEiE4typeELi0EEEvPS9_llT2_lT0_lSE_b
	.p2align	8
	.type	_ZN9rocsolver6v33100L8set_diagI19rocblas_complex_numIfEifPKPS3_TnNSt9enable_ifIXaa18rocblas_is_complexIT_Ent18rocblas_is_complexIT1_EEiE4typeELi0EEEvPS9_llT2_lT0_lSE_b,@function
_ZN9rocsolver6v33100L8set_diagI19rocblas_complex_numIfEifPKPS3_TnNSt9enable_ifIXaa18rocblas_is_complexIT_Ent18rocblas_is_complexIT1_EEiE4typeELi0EEEvPS9_llT2_lT0_lSE_b: ; @_ZN9rocsolver6v33100L8set_diagI19rocblas_complex_numIfEifPKPS3_TnNSt9enable_ifIXaa18rocblas_is_complexIT_Ent18rocblas_is_complexIT1_EEiE4typeELi0EEEvPS9_llT2_lT0_lSE_b
; %bb.0:
	s_load_u16 s4, s[0:1], 0x4e
	s_bfe_u32 s2, ttmp6, 0x40010
	s_bfe_u32 s6, ttmp6, 0x40004
	s_add_co_i32 s5, s2, 1
	s_load_b64 s[2:3], s[0:1], 0x38
	s_mul_i32 s5, ttmp7, s5
	s_getreg_b32 s12, hwreg(HW_REG_IB_STS2, 6, 4)
	s_add_co_i32 s6, s6, s5
	v_bfe_u32 v0, v0, 10, 10
	s_cmp_eq_u32 s12, 0
	s_cselect_b32 s5, ttmp7, s6
	s_wait_kmcnt 0x0
	s_delay_alu instid0(VALU_DEP_1) | instskip(NEXT) | instid1(VALU_DEP_1)
	v_mad_u32 v3, s5, s4, v0
	v_cmp_gt_i32_e32 vcc_lo, s2, v3
	s_and_saveexec_b32 s2, vcc_lo
	s_cbranch_execz .LBB47_5
; %bb.1:
	s_load_b256 s[4:11], s[0:1], 0x0
	s_bitcmp1_b32 s3, 0
	s_wait_xcnt 0x0
	s_load_b96 s[0:2], s[0:1], 0x20
	s_cselect_b32 s16, -1, 0
	s_bfe_u32 s3, ttmp6, 0x4000c
	s_and_b32 s13, ttmp6, 15
	s_add_co_i32 s3, s3, 1
	s_delay_alu instid0(SALU_CYCLE_1) | instskip(NEXT) | instid1(SALU_CYCLE_1)
	s_mul_i32 s3, ttmp9, s3
	s_add_co_i32 s13, s13, s3
	s_cmp_eq_u32 s12, 0
	s_cselect_b32 s12, ttmp9, s13
	s_and_b32 vcc_lo, exec_lo, s16
	s_ashr_i32 s13, s12, 31
	s_delay_alu instid0(SALU_CYCLE_1)
	s_lshl_b64 s[14:15], s[12:13], 3
	s_wait_kmcnt 0x0
	s_add_nc_u64 s[10:11], s[10:11], s[14:15]
	v_mad_u32 v0, v3, s2, v3
	s_load_b64 s[10:11], s[10:11], 0x0
	s_lshl_b64 s[0:1], s[0:1], 3
	s_lshl_b64 s[2:3], s[6:7], 2
	s_delay_alu instid0(VALU_DEP_1)
	v_ashrrev_i32_e32 v1, 31, v0
	s_wait_kmcnt 0x0
	s_add_nc_u64 s[0:1], s[10:11], s[0:1]
	s_delay_alu instid0(VALU_DEP_1) | instid1(SALU_CYCLE_1)
	v_lshl_add_u64 v[0:1], v[0:1], 3, s[0:1]
	s_mul_u64 s[0:1], s[8:9], s[12:13]
	s_delay_alu instid0(SALU_CYCLE_1) | instskip(SKIP_2) | instid1(SALU_CYCLE_1)
	s_lshl_b64 s[0:1], s[0:1], 2
	flat_load_b32 v2, v[0:1]
	s_add_nc_u64 s[0:1], s[4:5], s[0:1]
	s_add_nc_u64 s[0:1], s[0:1], s[2:3]
	s_wait_loadcnt_dscnt 0x0
	global_store_b32 v3, v2, s[0:1] scale_offset
	s_cbranch_vccnz .LBB47_3
; %bb.2:
	flat_load_b32 v3, v[0:1] offset:4
	s_branch .LBB47_4
.LBB47_3:
	s_wait_xcnt 0x0
	v_dual_mov_b32 v3, 0 :: v_dual_mov_b32 v2, 1.0
.LBB47_4:
	s_wait_loadcnt_dscnt 0x0
	flat_store_b64 v[0:1], v[2:3]
.LBB47_5:
	s_endpgm
	.section	.rodata,"a",@progbits
	.p2align	6, 0x0
	.amdhsa_kernel _ZN9rocsolver6v33100L8set_diagI19rocblas_complex_numIfEifPKPS3_TnNSt9enable_ifIXaa18rocblas_is_complexIT_Ent18rocblas_is_complexIT1_EEiE4typeELi0EEEvPS9_llT2_lT0_lSE_b
		.amdhsa_group_segment_fixed_size 0
		.amdhsa_private_segment_fixed_size 0
		.amdhsa_kernarg_size 320
		.amdhsa_user_sgpr_count 2
		.amdhsa_user_sgpr_dispatch_ptr 0
		.amdhsa_user_sgpr_queue_ptr 0
		.amdhsa_user_sgpr_kernarg_segment_ptr 1
		.amdhsa_user_sgpr_dispatch_id 0
		.amdhsa_user_sgpr_kernarg_preload_length 0
		.amdhsa_user_sgpr_kernarg_preload_offset 0
		.amdhsa_user_sgpr_private_segment_size 0
		.amdhsa_wavefront_size32 1
		.amdhsa_uses_dynamic_stack 0
		.amdhsa_enable_private_segment 0
		.amdhsa_system_sgpr_workgroup_id_x 1
		.amdhsa_system_sgpr_workgroup_id_y 1
		.amdhsa_system_sgpr_workgroup_id_z 0
		.amdhsa_system_sgpr_workgroup_info 0
		.amdhsa_system_vgpr_workitem_id 1
		.amdhsa_next_free_vgpr 4
		.amdhsa_next_free_sgpr 17
		.amdhsa_named_barrier_count 0
		.amdhsa_reserve_vcc 1
		.amdhsa_float_round_mode_32 0
		.amdhsa_float_round_mode_16_64 0
		.amdhsa_float_denorm_mode_32 3
		.amdhsa_float_denorm_mode_16_64 3
		.amdhsa_fp16_overflow 0
		.amdhsa_memory_ordered 1
		.amdhsa_forward_progress 1
		.amdhsa_inst_pref_size 3
		.amdhsa_round_robin_scheduling 0
		.amdhsa_exception_fp_ieee_invalid_op 0
		.amdhsa_exception_fp_denorm_src 0
		.amdhsa_exception_fp_ieee_div_zero 0
		.amdhsa_exception_fp_ieee_overflow 0
		.amdhsa_exception_fp_ieee_underflow 0
		.amdhsa_exception_fp_ieee_inexact 0
		.amdhsa_exception_int_div_zero 0
	.end_amdhsa_kernel
	.section	.text._ZN9rocsolver6v33100L8set_diagI19rocblas_complex_numIfEifPKPS3_TnNSt9enable_ifIXaa18rocblas_is_complexIT_Ent18rocblas_is_complexIT1_EEiE4typeELi0EEEvPS9_llT2_lT0_lSE_b,"axG",@progbits,_ZN9rocsolver6v33100L8set_diagI19rocblas_complex_numIfEifPKPS3_TnNSt9enable_ifIXaa18rocblas_is_complexIT_Ent18rocblas_is_complexIT1_EEiE4typeELi0EEEvPS9_llT2_lT0_lSE_b,comdat
.Lfunc_end47:
	.size	_ZN9rocsolver6v33100L8set_diagI19rocblas_complex_numIfEifPKPS3_TnNSt9enable_ifIXaa18rocblas_is_complexIT_Ent18rocblas_is_complexIT1_EEiE4typeELi0EEEvPS9_llT2_lT0_lSE_b, .Lfunc_end47-_ZN9rocsolver6v33100L8set_diagI19rocblas_complex_numIfEifPKPS3_TnNSt9enable_ifIXaa18rocblas_is_complexIT_Ent18rocblas_is_complexIT1_EEiE4typeELi0EEEvPS9_llT2_lT0_lSE_b
                                        ; -- End function
	.set _ZN9rocsolver6v33100L8set_diagI19rocblas_complex_numIfEifPKPS3_TnNSt9enable_ifIXaa18rocblas_is_complexIT_Ent18rocblas_is_complexIT1_EEiE4typeELi0EEEvPS9_llT2_lT0_lSE_b.num_vgpr, 4
	.set _ZN9rocsolver6v33100L8set_diagI19rocblas_complex_numIfEifPKPS3_TnNSt9enable_ifIXaa18rocblas_is_complexIT_Ent18rocblas_is_complexIT1_EEiE4typeELi0EEEvPS9_llT2_lT0_lSE_b.num_agpr, 0
	.set _ZN9rocsolver6v33100L8set_diagI19rocblas_complex_numIfEifPKPS3_TnNSt9enable_ifIXaa18rocblas_is_complexIT_Ent18rocblas_is_complexIT1_EEiE4typeELi0EEEvPS9_llT2_lT0_lSE_b.numbered_sgpr, 17
	.set _ZN9rocsolver6v33100L8set_diagI19rocblas_complex_numIfEifPKPS3_TnNSt9enable_ifIXaa18rocblas_is_complexIT_Ent18rocblas_is_complexIT1_EEiE4typeELi0EEEvPS9_llT2_lT0_lSE_b.num_named_barrier, 0
	.set _ZN9rocsolver6v33100L8set_diagI19rocblas_complex_numIfEifPKPS3_TnNSt9enable_ifIXaa18rocblas_is_complexIT_Ent18rocblas_is_complexIT1_EEiE4typeELi0EEEvPS9_llT2_lT0_lSE_b.private_seg_size, 0
	.set _ZN9rocsolver6v33100L8set_diagI19rocblas_complex_numIfEifPKPS3_TnNSt9enable_ifIXaa18rocblas_is_complexIT_Ent18rocblas_is_complexIT1_EEiE4typeELi0EEEvPS9_llT2_lT0_lSE_b.uses_vcc, 1
	.set _ZN9rocsolver6v33100L8set_diagI19rocblas_complex_numIfEifPKPS3_TnNSt9enable_ifIXaa18rocblas_is_complexIT_Ent18rocblas_is_complexIT1_EEiE4typeELi0EEEvPS9_llT2_lT0_lSE_b.uses_flat_scratch, 0
	.set _ZN9rocsolver6v33100L8set_diagI19rocblas_complex_numIfEifPKPS3_TnNSt9enable_ifIXaa18rocblas_is_complexIT_Ent18rocblas_is_complexIT1_EEiE4typeELi0EEEvPS9_llT2_lT0_lSE_b.has_dyn_sized_stack, 0
	.set _ZN9rocsolver6v33100L8set_diagI19rocblas_complex_numIfEifPKPS3_TnNSt9enable_ifIXaa18rocblas_is_complexIT_Ent18rocblas_is_complexIT1_EEiE4typeELi0EEEvPS9_llT2_lT0_lSE_b.has_recursion, 0
	.set _ZN9rocsolver6v33100L8set_diagI19rocblas_complex_numIfEifPKPS3_TnNSt9enable_ifIXaa18rocblas_is_complexIT_Ent18rocblas_is_complexIT1_EEiE4typeELi0EEEvPS9_llT2_lT0_lSE_b.has_indirect_call, 0
	.section	.AMDGPU.csdata,"",@progbits
; Kernel info:
; codeLenInByte = 332
; TotalNumSgprs: 19
; NumVgprs: 4
; ScratchSize: 0
; MemoryBound: 0
; FloatMode: 240
; IeeeMode: 1
; LDSByteSize: 0 bytes/workgroup (compile time only)
; SGPRBlocks: 0
; VGPRBlocks: 0
; NumSGPRsForWavesPerEU: 19
; NumVGPRsForWavesPerEU: 4
; NamedBarCnt: 0
; Occupancy: 16
; WaveLimiterHint : 1
; COMPUTE_PGM_RSRC2:SCRATCH_EN: 0
; COMPUTE_PGM_RSRC2:USER_SGPR: 2
; COMPUTE_PGM_RSRC2:TRAP_HANDLER: 0
; COMPUTE_PGM_RSRC2:TGID_X_EN: 1
; COMPUTE_PGM_RSRC2:TGID_Y_EN: 1
; COMPUTE_PGM_RSRC2:TGID_Z_EN: 0
; COMPUTE_PGM_RSRC2:TIDIG_COMP_CNT: 1
	.section	.text._ZN9rocsolver6v33100L11set_taubetaI19rocblas_complex_numIfEifPKPS3_EEvPT_lS8_T2_llPT1_ll,"axG",@progbits,_ZN9rocsolver6v33100L11set_taubetaI19rocblas_complex_numIfEifPKPS3_EEvPT_lS8_T2_llPT1_ll,comdat
	.globl	_ZN9rocsolver6v33100L11set_taubetaI19rocblas_complex_numIfEifPKPS3_EEvPT_lS8_T2_llPT1_ll ; -- Begin function _ZN9rocsolver6v33100L11set_taubetaI19rocblas_complex_numIfEifPKPS3_EEvPT_lS8_T2_llPT1_ll
	.p2align	8
	.type	_ZN9rocsolver6v33100L11set_taubetaI19rocblas_complex_numIfEifPKPS3_EEvPT_lS8_T2_llPT1_ll,@function
_ZN9rocsolver6v33100L11set_taubetaI19rocblas_complex_numIfEifPKPS3_EEvPT_lS8_T2_llPT1_ll: ; @_ZN9rocsolver6v33100L11set_taubetaI19rocblas_complex_numIfEifPKPS3_EEvPT_lS8_T2_llPT1_ll
; %bb.0:
	s_load_b256 s[4:11], s[0:1], 0x0
	s_bfe_u32 s2, ttmp6, 0x4000c
	s_and_b32 s3, ttmp6, 15
	s_add_co_i32 s2, s2, 1
	s_getreg_b32 s12, hwreg(HW_REG_IB_STS2, 6, 4)
	s_mul_i32 s2, ttmp9, s2
	s_mov_b32 s22, 0
	s_add_co_i32 s3, s3, s2
	s_cmp_eq_u32 s12, 0
	s_load_b128 s[12:15], s[0:1], 0x30
	s_cselect_b32 s2, ttmp9, s3
	s_delay_alu instid0(SALU_CYCLE_1) | instskip(NEXT) | instid1(SALU_CYCLE_1)
	s_ashr_i32 s3, s2, 31
	s_lshl_b64 s[18:19], s[2:3], 3
	s_wait_kmcnt 0x0
	s_add_nc_u64 s[16:17], s[10:11], s[18:19]
	s_load_b64 s[20:21], s[0:1], 0x20
	s_load_b64 s[10:11], s[16:17], 0x0
	s_wait_xcnt 0x0
	s_mov_b64 s[16:17], 0
	s_cmp_eq_u64 s[12:13], 0
	s_cbranch_scc1 .LBB48_2
; %bb.1:
	s_load_b64 s[0:1], s[0:1], 0x40
	s_wait_kmcnt 0x0
	s_mul_u64 s[0:1], s[0:1], s[2:3]
	s_delay_alu instid0(SALU_CYCLE_1) | instskip(NEXT) | instid1(SALU_CYCLE_1)
	s_lshl_b64 s[0:1], s[0:1], 2
	s_add_nc_u64 s[0:1], s[12:13], s[0:1]
	s_lshl_b64 s[12:13], s[14:15], 2
	s_delay_alu instid0(SALU_CYCLE_1)
	s_add_nc_u64 s[16:17], s[0:1], s[12:13]
.LBB48_2:
	v_mov_b32_e32 v2, 0
	s_wait_kmcnt 0x0
	s_lshl_b64 s[0:1], s[20:21], 3
	s_add_nc_u64 s[8:9], s[8:9], s[18:19]
	s_add_nc_u64 s[10:11], s[10:11], s[0:1]
	s_load_b32 s0, s[8:9], 0x0
	flat_load_b32 v0, v2, s[10:11] offset:4
	s_mul_u64 s[2:3], s[6:7], s[2:3]
	s_mov_b32 s1, exec_lo
	s_lshl_b64 s[2:3], s[2:3], 3
	s_cmp_lg_u64 s[16:17], 0
	s_add_nc_u64 s[4:5], s[4:5], s[2:3]
	s_cselect_b32 s3, -1, 0
	s_wait_kmcnt 0x0
	v_max_num_f32_e64 v3, s0, s0
	s_wait_loadcnt_dscnt 0x0
	v_mul_f32_e32 v1, v0, v0
	s_delay_alu instid0(VALU_DEP_1) | instskip(NEXT) | instid1(VALU_DEP_1)
	v_max_num_f32_e32 v3, v3, v1
	v_cmpx_nlt_f32_e32 0, v3
	s_xor_b32 s1, exec_lo, s1
	s_cbranch_execz .LBB48_7
; %bb.3:
	v_mov_b64_e32 v[0:1], 0x3f800000
	v_mov_b64_e32 v[4:5], 0
	s_and_b32 vcc_lo, exec_lo, s3
	s_clause 0x1
	global_store_b64 v2, v[0:1], s[8:9]
	global_store_b64 v2, v[4:5], s[4:5]
	s_cbranch_vccz .LBB48_14
; %bb.4:
	s_wait_xcnt 0x0
	v_dual_mov_b32 v0, 0 :: v_dual_mov_b32 v2, 1.0
	s_mov_b32 s2, -1
	flat_load_b32 v1, v0, s[10:11]
	s_wait_loadcnt_dscnt 0x0
	global_store_b32 v0, v1, s[16:17]
	flat_store_b32 v0, v2, s[10:11]
	s_and_b32 s22, s2, exec_lo
                                        ; implicit-def: $vgpr1
                                        ; implicit-def: $vgpr0
	s_wait_xcnt 0x0
	s_and_not1_saveexec_b32 s6, s1
	s_cbranch_execnz .LBB48_8
.LBB48_5:
	s_or_b32 exec_lo, exec_lo, s6
	s_and_saveexec_b32 s0, s22
	s_cbranch_execz .LBB48_13
.LBB48_6:
	v_mov_b32_e32 v0, 0
	flat_store_b32 v0, v0, s[10:11] offset:4
	s_endpgm
.LBB48_7:
	s_and_not1_saveexec_b32 s6, s1
	s_cbranch_execz .LBB48_5
.LBB48_8:
	v_mov_b32_e32 v2, 0
	flat_load_b32 v4, v2, s[10:11]
	s_wait_loadcnt_dscnt 0x0
	v_fma_f32 v3, v4, v4, v1
	s_delay_alu instid0(VALU_DEP_1) | instskip(NEXT) | instid1(VALU_DEP_1)
	v_add_f32_e32 v3, s0, v3
	v_mul_f32_e32 v5, 0x4f800000, v3
	v_cmp_gt_f32_e32 vcc_lo, 0xf800000, v3
	s_delay_alu instid0(VALU_DEP_2) | instskip(NEXT) | instid1(VALU_DEP_1)
	v_cndmask_b32_e32 v3, v3, v5, vcc_lo
	v_sqrt_f32_e32 v5, v3
	v_nop
	s_delay_alu instid0(TRANS32_DEP_1) | instskip(NEXT) | instid1(VALU_DEP_1)
	v_dual_add_nc_u32 v6, -1, v5 :: v_dual_add_nc_u32 v7, 1, v5
	v_dual_fma_f32 v8, -v6, v5, v3 :: v_dual_fma_f32 v9, -v7, v5, v3
	s_delay_alu instid0(VALU_DEP_1) | instskip(NEXT) | instid1(VALU_DEP_1)
	v_cmp_ge_f32_e64 s0, 0, v8
	v_cndmask_b32_e64 v5, v5, v6, s0
	s_delay_alu instid0(VALU_DEP_3) | instskip(NEXT) | instid1(VALU_DEP_1)
	v_cmp_lt_f32_e64 s0, 0, v9
	v_cndmask_b32_e64 v5, v5, v7, s0
	s_delay_alu instid0(VALU_DEP_1) | instskip(NEXT) | instid1(VALU_DEP_1)
	v_mul_f32_e32 v6, 0x37800000, v5
	v_cndmask_b32_e32 v5, v5, v6, vcc_lo
	v_cmp_class_f32_e64 vcc_lo, v3, 0x260
	s_delay_alu instid0(VALU_DEP_2) | instskip(SKIP_1) | instid1(VALU_DEP_2)
	v_cndmask_b32_e32 v3, v5, v3, vcc_lo
	v_cmp_le_f32_e32 vcc_lo, 0, v4
	v_cndmask_b32_e64 v3, v3, -v3, vcc_lo
	s_delay_alu instid0(VALU_DEP_1) | instskip(SKIP_1) | instid1(VALU_DEP_2)
	v_sub_f32_e32 v6, v3, v4
	v_div_scale_f32 v10, s0, -v0, v3, -v0
	v_div_scale_f32 v7, null, v3, v3, v6
	v_div_scale_f32 v15, s1, v6, v3, v6
	s_delay_alu instid0(VALU_DEP_2) | instskip(SKIP_1) | instid1(TRANS32_DEP_1)
	v_rcp_f32_e32 v12, v7
	v_nop
	v_fma_f32 v18, -v7, v12, 1.0
	s_delay_alu instid0(VALU_DEP_1) | instskip(SKIP_1) | instid1(VALU_DEP_2)
	v_dual_fmac_f32 v12, v18, v12 :: v_dual_sub_f32 v5, v4, v3
	v_div_scale_f32 v4, null, v3, v3, -v0
	v_fmac_f32_e32 v1, v5, v5
	s_delay_alu instid0(VALU_DEP_2) | instskip(NEXT) | instid1(VALU_DEP_1)
	v_rcp_f32_e32 v11, v4
	v_div_scale_f32 v9, null, v1, v1, -v0
	s_delay_alu instid0(TRANS32_DEP_1) | instskip(NEXT) | instid1(VALU_DEP_2)
	v_fma_f32 v17, -v4, v11, 1.0
	v_rcp_f32_e32 v14, v9
	v_nop
	s_delay_alu instid0(TRANS32_DEP_1) | instskip(NEXT) | instid1(VALU_DEP_1)
	v_fma_f32 v20, -v9, v14, 1.0
	v_fmac_f32_e32 v14, v20, v14
	v_div_scale_f32 v8, null, v1, v1, v5
	v_div_scale_f32 v21, s2, -v0, v1, -v0
	s_delay_alu instid0(VALU_DEP_2) | instskip(NEXT) | instid1(VALU_DEP_1)
	v_rcp_f32_e32 v13, v8
	v_mul_f32_e32 v20, v21, v14
	s_delay_alu instid0(TRANS32_DEP_1) | instskip(NEXT) | instid1(VALU_DEP_2)
	v_fma_f32 v19, -v8, v13, 1.0
	v_fma_f32 v25, -v9, v20, v21
	s_delay_alu instid0(VALU_DEP_2) | instskip(SKIP_3) | instid1(VALU_DEP_3)
	v_fmac_f32_e32 v13, v19, v13
	v_mul_f32_e32 v19, v15, v12
	v_div_scale_f32 v16, vcc_lo, v5, v1, v5
	v_fmac_f32_e32 v11, v17, v11
	v_dual_fmac_f32 v20, v25, v14 :: v_dual_fma_f32 v24, -v7, v19, v15
	s_delay_alu instid0(VALU_DEP_2) | instskip(NEXT) | instid1(VALU_DEP_2)
	v_dual_mul_f32 v18, v16, v13 :: v_dual_mul_f32 v17, v10, v11
	v_fma_f32 v9, -v9, v20, v21
	s_delay_alu instid0(VALU_DEP_3) | instskip(NEXT) | instid1(VALU_DEP_3)
	v_fmac_f32_e32 v19, v24, v12
	v_fma_f32 v23, -v8, v18, v16
	s_delay_alu instid0(VALU_DEP_2) | instskip(NEXT) | instid1(VALU_DEP_1)
	v_dual_fma_f32 v22, -v4, v17, v10 :: v_dual_fma_f32 v7, -v7, v19, v15
	v_dual_fmac_f32 v18, v23, v13 :: v_dual_fmac_f32 v17, v22, v11
	s_delay_alu instid0(VALU_DEP_1) | instskip(NEXT) | instid1(VALU_DEP_2)
	v_fma_f32 v8, -v8, v18, v16
	v_fma_f32 v4, -v4, v17, v10
	s_delay_alu instid0(VALU_DEP_2)
	v_div_fmas_f32 v8, v8, v13, v18
	s_mov_b32 vcc_lo, s2
	v_div_fmas_f32 v9, v9, v14, v20
	s_mov_b32 vcc_lo, s1
	;; [unrolled: 2-line block ×3, first 2 shown]
	s_mov_b32 s0, -1
	v_div_fmas_f32 v10, v4, v11, v17
	v_div_fixup_f32 v4, v8, v1, v5
	v_div_fixup_f32 v5, v9, v1, -v0
	v_div_fixup_f32 v6, v7, v3, v6
	s_and_b32 vcc_lo, exec_lo, s3
	v_div_fixup_f32 v7, v10, v3, -v0
	s_clause 0x1
	global_store_b64 v2, v[4:5], s[8:9]
	global_store_b64 v2, v[6:7], s[4:5]
	s_cbranch_vccz .LBB48_10
; %bb.9:
	v_mov_b32_e32 v0, 1.0
	global_store_b32 v2, v3, s[16:17]
	s_mov_b32 s0, 0
	flat_store_b32 v2, v0, s[10:11]
.LBB48_10:
	s_and_not1_b32 vcc_lo, exec_lo, s0
	s_cbranch_vccnz .LBB48_12
; %bb.11:
	s_wait_xcnt 0x0
	v_mov_b32_e32 v0, 0
	flat_store_b32 v0, v3, s[10:11]
.LBB48_12:
	s_or_b32 s22, s22, exec_lo
	s_wait_xcnt 0x0
	s_or_b32 exec_lo, exec_lo, s6
	s_and_saveexec_b32 s0, s22
	s_cbranch_execnz .LBB48_6
.LBB48_13:
	s_endpgm
.LBB48_14:
	s_mov_b32 s2, 0
	s_delay_alu instid0(SALU_CYCLE_1)
	s_and_b32 s22, s2, exec_lo
                                        ; implicit-def: $vgpr1
                                        ; implicit-def: $vgpr0
	s_wait_xcnt 0x0
	s_and_not1_saveexec_b32 s6, s1
	s_cbranch_execz .LBB48_5
	s_branch .LBB48_8
	.section	.rodata,"a",@progbits
	.p2align	6, 0x0
	.amdhsa_kernel _ZN9rocsolver6v33100L11set_taubetaI19rocblas_complex_numIfEifPKPS3_EEvPT_lS8_T2_llPT1_ll
		.amdhsa_group_segment_fixed_size 0
		.amdhsa_private_segment_fixed_size 0
		.amdhsa_kernarg_size 72
		.amdhsa_user_sgpr_count 2
		.amdhsa_user_sgpr_dispatch_ptr 0
		.amdhsa_user_sgpr_queue_ptr 0
		.amdhsa_user_sgpr_kernarg_segment_ptr 1
		.amdhsa_user_sgpr_dispatch_id 0
		.amdhsa_user_sgpr_kernarg_preload_length 0
		.amdhsa_user_sgpr_kernarg_preload_offset 0
		.amdhsa_user_sgpr_private_segment_size 0
		.amdhsa_wavefront_size32 1
		.amdhsa_uses_dynamic_stack 0
		.amdhsa_enable_private_segment 0
		.amdhsa_system_sgpr_workgroup_id_x 1
		.amdhsa_system_sgpr_workgroup_id_y 0
		.amdhsa_system_sgpr_workgroup_id_z 0
		.amdhsa_system_sgpr_workgroup_info 0
		.amdhsa_system_vgpr_workitem_id 0
		.amdhsa_next_free_vgpr 26
		.amdhsa_next_free_sgpr 23
		.amdhsa_named_barrier_count 0
		.amdhsa_reserve_vcc 1
		.amdhsa_float_round_mode_32 0
		.amdhsa_float_round_mode_16_64 0
		.amdhsa_float_denorm_mode_32 3
		.amdhsa_float_denorm_mode_16_64 3
		.amdhsa_fp16_overflow 0
		.amdhsa_memory_ordered 1
		.amdhsa_forward_progress 1
		.amdhsa_inst_pref_size 9
		.amdhsa_round_robin_scheduling 0
		.amdhsa_exception_fp_ieee_invalid_op 0
		.amdhsa_exception_fp_denorm_src 0
		.amdhsa_exception_fp_ieee_div_zero 0
		.amdhsa_exception_fp_ieee_overflow 0
		.amdhsa_exception_fp_ieee_underflow 0
		.amdhsa_exception_fp_ieee_inexact 0
		.amdhsa_exception_int_div_zero 0
	.end_amdhsa_kernel
	.section	.text._ZN9rocsolver6v33100L11set_taubetaI19rocblas_complex_numIfEifPKPS3_EEvPT_lS8_T2_llPT1_ll,"axG",@progbits,_ZN9rocsolver6v33100L11set_taubetaI19rocblas_complex_numIfEifPKPS3_EEvPT_lS8_T2_llPT1_ll,comdat
.Lfunc_end48:
	.size	_ZN9rocsolver6v33100L11set_taubetaI19rocblas_complex_numIfEifPKPS3_EEvPT_lS8_T2_llPT1_ll, .Lfunc_end48-_ZN9rocsolver6v33100L11set_taubetaI19rocblas_complex_numIfEifPKPS3_EEvPT_lS8_T2_llPT1_ll
                                        ; -- End function
	.set _ZN9rocsolver6v33100L11set_taubetaI19rocblas_complex_numIfEifPKPS3_EEvPT_lS8_T2_llPT1_ll.num_vgpr, 26
	.set _ZN9rocsolver6v33100L11set_taubetaI19rocblas_complex_numIfEifPKPS3_EEvPT_lS8_T2_llPT1_ll.num_agpr, 0
	.set _ZN9rocsolver6v33100L11set_taubetaI19rocblas_complex_numIfEifPKPS3_EEvPT_lS8_T2_llPT1_ll.numbered_sgpr, 23
	.set _ZN9rocsolver6v33100L11set_taubetaI19rocblas_complex_numIfEifPKPS3_EEvPT_lS8_T2_llPT1_ll.num_named_barrier, 0
	.set _ZN9rocsolver6v33100L11set_taubetaI19rocblas_complex_numIfEifPKPS3_EEvPT_lS8_T2_llPT1_ll.private_seg_size, 0
	.set _ZN9rocsolver6v33100L11set_taubetaI19rocblas_complex_numIfEifPKPS3_EEvPT_lS8_T2_llPT1_ll.uses_vcc, 1
	.set _ZN9rocsolver6v33100L11set_taubetaI19rocblas_complex_numIfEifPKPS3_EEvPT_lS8_T2_llPT1_ll.uses_flat_scratch, 0
	.set _ZN9rocsolver6v33100L11set_taubetaI19rocblas_complex_numIfEifPKPS3_EEvPT_lS8_T2_llPT1_ll.has_dyn_sized_stack, 0
	.set _ZN9rocsolver6v33100L11set_taubetaI19rocblas_complex_numIfEifPKPS3_EEvPT_lS8_T2_llPT1_ll.has_recursion, 0
	.set _ZN9rocsolver6v33100L11set_taubetaI19rocblas_complex_numIfEifPKPS3_EEvPT_lS8_T2_llPT1_ll.has_indirect_call, 0
	.section	.AMDGPU.csdata,"",@progbits
; Kernel info:
; codeLenInByte = 1124
; TotalNumSgprs: 25
; NumVgprs: 26
; ScratchSize: 0
; MemoryBound: 0
; FloatMode: 240
; IeeeMode: 1
; LDSByteSize: 0 bytes/workgroup (compile time only)
; SGPRBlocks: 0
; VGPRBlocks: 1
; NumSGPRsForWavesPerEU: 25
; NumVGPRsForWavesPerEU: 26
; NamedBarCnt: 0
; Occupancy: 16
; WaveLimiterHint : 1
; COMPUTE_PGM_RSRC2:SCRATCH_EN: 0
; COMPUTE_PGM_RSRC2:USER_SGPR: 2
; COMPUTE_PGM_RSRC2:TRAP_HANDLER: 0
; COMPUTE_PGM_RSRC2:TGID_X_EN: 1
; COMPUTE_PGM_RSRC2:TGID_Y_EN: 0
; COMPUTE_PGM_RSRC2:TGID_Z_EN: 0
; COMPUTE_PGM_RSRC2:TIDIG_COMP_CNT: 0
	.section	.text._ZN9rocsolver6v33100L13conj_in_placeI19rocblas_complex_numIfEiPS3_TnNSt9enable_ifIX18rocblas_is_complexIT_EEiE4typeELi0EEEvT0_S9_T1_lS9_l,"axG",@progbits,_ZN9rocsolver6v33100L13conj_in_placeI19rocblas_complex_numIfEiPS3_TnNSt9enable_ifIX18rocblas_is_complexIT_EEiE4typeELi0EEEvT0_S9_T1_lS9_l,comdat
	.globl	_ZN9rocsolver6v33100L13conj_in_placeI19rocblas_complex_numIfEiPS3_TnNSt9enable_ifIX18rocblas_is_complexIT_EEiE4typeELi0EEEvT0_S9_T1_lS9_l ; -- Begin function _ZN9rocsolver6v33100L13conj_in_placeI19rocblas_complex_numIfEiPS3_TnNSt9enable_ifIX18rocblas_is_complexIT_EEiE4typeELi0EEEvT0_S9_T1_lS9_l
	.p2align	8
	.type	_ZN9rocsolver6v33100L13conj_in_placeI19rocblas_complex_numIfEiPS3_TnNSt9enable_ifIX18rocblas_is_complexIT_EEiE4typeELi0EEEvT0_S9_T1_lS9_l,@function
_ZN9rocsolver6v33100L13conj_in_placeI19rocblas_complex_numIfEiPS3_TnNSt9enable_ifIX18rocblas_is_complexIT_EEiE4typeELi0EEEvT0_S9_T1_lS9_l: ; @_ZN9rocsolver6v33100L13conj_in_placeI19rocblas_complex_numIfEiPS3_TnNSt9enable_ifIX18rocblas_is_complexIT_EEiE4typeELi0EEEvT0_S9_T1_lS9_l
; %bb.0:
	s_clause 0x1
	s_load_b32 s5, s[0:1], 0x34
	s_load_b64 s[2:3], s[0:1], 0x0
	s_bfe_u32 s7, ttmp6, 0x40010
	s_bfe_u32 s10, ttmp6, 0x4000c
	s_and_b32 s6, ttmp7, 0xffff
	s_add_co_i32 s7, s7, 1
	s_add_co_i32 s10, s10, 1
	s_bfe_u32 s8, ttmp6, 0x40004
	s_and_b32 s9, ttmp6, 15
	s_mul_i32 s7, s6, s7
	s_mul_i32 s10, ttmp9, s10
	s_getreg_b32 s4, hwreg(HW_REG_IB_STS2, 6, 4)
	v_and_b32_e32 v1, 0x3ff, v0
	v_bfe_u32 v2, v0, 10, 10
	s_add_co_i32 s8, s8, s7
	s_add_co_i32 s9, s9, s10
	s_wait_kmcnt 0x0
	s_lshr_b32 s7, s5, 16
	s_and_b32 s5, s5, 0xffff
	s_cmp_eq_u32 s4, 0
	s_cselect_b32 s9, ttmp9, s9
	s_cselect_b32 s6, s6, s8
	v_mad_u32 v0, s9, s5, v1
	v_mad_u32 v2, s6, s7, v2
	s_delay_alu instid0(VALU_DEP_2) | instskip(NEXT) | instid1(VALU_DEP_2)
	v_cmp_gt_i32_e32 vcc_lo, s2, v0
	v_cmp_gt_i32_e64 s2, s3, v2
	s_mov_b32 s3, 0
	s_and_b32 s2, vcc_lo, s2
	s_delay_alu instid0(SALU_CYCLE_1)
	s_and_saveexec_b32 s5, s2
	s_cbranch_execz .LBB49_2
; %bb.1:
	s_load_b32 s6, s[0:1], 0x18
	v_dual_ashrrev_i32 v3, 31, v2 :: v_dual_ashrrev_i32 v1, 31, v0
	s_clause 0x1
	s_load_b64 s[12:13], s[0:1], 0x20
	s_load_b128 s[8:11], s[0:1], 0x8
	s_wait_xcnt 0x0
	s_bfe_u32 s0, ttmp6, 0x40014
	s_lshr_b32 s1, ttmp7, 16
	s_add_co_i32 s0, s0, 1
	s_bfe_u32 s2, ttmp6, 0x40008
	s_mul_i32 s0, s1, s0
	s_delay_alu instid0(SALU_CYCLE_1)
	s_add_co_i32 s2, s2, s0
	s_wait_kmcnt 0x0
	s_ashr_i32 s7, s6, 31
	s_cmp_eq_u32 s4, 0
	v_mul_u64_e32 v[4:5], s[6:7], v[2:3]
	s_cselect_b32 s2, s1, s2
	s_delay_alu instid0(SALU_CYCLE_1) | instskip(SKIP_2) | instid1(SALU_CYCLE_1)
	s_mul_u64 s[0:1], s[12:13], s[2:3]
	s_lshl_b64 s[2:3], s[10:11], 3
	s_lshl_b64 s[0:1], s[0:1], 3
	s_add_nc_u64 s[0:1], s[8:9], s[0:1]
	s_delay_alu instid0(SALU_CYCLE_1)
	s_add_nc_u64 s[0:1], s[0:1], s[2:3]
	s_delay_alu instid0(VALU_DEP_1) | instid1(SALU_CYCLE_1)
	v_lshl_add_u64 v[4:5], v[4:5], 3, s[0:1]
	s_delay_alu instid0(VALU_DEP_1)
	v_lshl_add_u64 v[4:5], v[0:1], 3, v[4:5]
	v_mad_u32 v0, v2, s6, v0
	global_load_b64 v[4:5], v[4:5], off
	s_wait_loadcnt 0x0
	v_xor_b32_e32 v5, 0x80000000, v5
	global_store_b64 v0, v[4:5], s[0:1] scale_offset
.LBB49_2:
	s_endpgm
	.section	.rodata,"a",@progbits
	.p2align	6, 0x0
	.amdhsa_kernel _ZN9rocsolver6v33100L13conj_in_placeI19rocblas_complex_numIfEiPS3_TnNSt9enable_ifIX18rocblas_is_complexIT_EEiE4typeELi0EEEvT0_S9_T1_lS9_l
		.amdhsa_group_segment_fixed_size 0
		.amdhsa_private_segment_fixed_size 0
		.amdhsa_kernarg_size 296
		.amdhsa_user_sgpr_count 2
		.amdhsa_user_sgpr_dispatch_ptr 0
		.amdhsa_user_sgpr_queue_ptr 0
		.amdhsa_user_sgpr_kernarg_segment_ptr 1
		.amdhsa_user_sgpr_dispatch_id 0
		.amdhsa_user_sgpr_kernarg_preload_length 0
		.amdhsa_user_sgpr_kernarg_preload_offset 0
		.amdhsa_user_sgpr_private_segment_size 0
		.amdhsa_wavefront_size32 1
		.amdhsa_uses_dynamic_stack 0
		.amdhsa_enable_private_segment 0
		.amdhsa_system_sgpr_workgroup_id_x 1
		.amdhsa_system_sgpr_workgroup_id_y 1
		.amdhsa_system_sgpr_workgroup_id_z 1
		.amdhsa_system_sgpr_workgroup_info 0
		.amdhsa_system_vgpr_workitem_id 1
		.amdhsa_next_free_vgpr 6
		.amdhsa_next_free_sgpr 14
		.amdhsa_named_barrier_count 0
		.amdhsa_reserve_vcc 1
		.amdhsa_float_round_mode_32 0
		.amdhsa_float_round_mode_16_64 0
		.amdhsa_float_denorm_mode_32 3
		.amdhsa_float_denorm_mode_16_64 3
		.amdhsa_fp16_overflow 0
		.amdhsa_memory_ordered 1
		.amdhsa_forward_progress 1
		.amdhsa_inst_pref_size 3
		.amdhsa_round_robin_scheduling 0
		.amdhsa_exception_fp_ieee_invalid_op 0
		.amdhsa_exception_fp_denorm_src 0
		.amdhsa_exception_fp_ieee_div_zero 0
		.amdhsa_exception_fp_ieee_overflow 0
		.amdhsa_exception_fp_ieee_underflow 0
		.amdhsa_exception_fp_ieee_inexact 0
		.amdhsa_exception_int_div_zero 0
	.end_amdhsa_kernel
	.section	.text._ZN9rocsolver6v33100L13conj_in_placeI19rocblas_complex_numIfEiPS3_TnNSt9enable_ifIX18rocblas_is_complexIT_EEiE4typeELi0EEEvT0_S9_T1_lS9_l,"axG",@progbits,_ZN9rocsolver6v33100L13conj_in_placeI19rocblas_complex_numIfEiPS3_TnNSt9enable_ifIX18rocblas_is_complexIT_EEiE4typeELi0EEEvT0_S9_T1_lS9_l,comdat
.Lfunc_end49:
	.size	_ZN9rocsolver6v33100L13conj_in_placeI19rocblas_complex_numIfEiPS3_TnNSt9enable_ifIX18rocblas_is_complexIT_EEiE4typeELi0EEEvT0_S9_T1_lS9_l, .Lfunc_end49-_ZN9rocsolver6v33100L13conj_in_placeI19rocblas_complex_numIfEiPS3_TnNSt9enable_ifIX18rocblas_is_complexIT_EEiE4typeELi0EEEvT0_S9_T1_lS9_l
                                        ; -- End function
	.set _ZN9rocsolver6v33100L13conj_in_placeI19rocblas_complex_numIfEiPS3_TnNSt9enable_ifIX18rocblas_is_complexIT_EEiE4typeELi0EEEvT0_S9_T1_lS9_l.num_vgpr, 6
	.set _ZN9rocsolver6v33100L13conj_in_placeI19rocblas_complex_numIfEiPS3_TnNSt9enable_ifIX18rocblas_is_complexIT_EEiE4typeELi0EEEvT0_S9_T1_lS9_l.num_agpr, 0
	.set _ZN9rocsolver6v33100L13conj_in_placeI19rocblas_complex_numIfEiPS3_TnNSt9enable_ifIX18rocblas_is_complexIT_EEiE4typeELi0EEEvT0_S9_T1_lS9_l.numbered_sgpr, 14
	.set _ZN9rocsolver6v33100L13conj_in_placeI19rocblas_complex_numIfEiPS3_TnNSt9enable_ifIX18rocblas_is_complexIT_EEiE4typeELi0EEEvT0_S9_T1_lS9_l.num_named_barrier, 0
	.set _ZN9rocsolver6v33100L13conj_in_placeI19rocblas_complex_numIfEiPS3_TnNSt9enable_ifIX18rocblas_is_complexIT_EEiE4typeELi0EEEvT0_S9_T1_lS9_l.private_seg_size, 0
	.set _ZN9rocsolver6v33100L13conj_in_placeI19rocblas_complex_numIfEiPS3_TnNSt9enable_ifIX18rocblas_is_complexIT_EEiE4typeELi0EEEvT0_S9_T1_lS9_l.uses_vcc, 1
	.set _ZN9rocsolver6v33100L13conj_in_placeI19rocblas_complex_numIfEiPS3_TnNSt9enable_ifIX18rocblas_is_complexIT_EEiE4typeELi0EEEvT0_S9_T1_lS9_l.uses_flat_scratch, 0
	.set _ZN9rocsolver6v33100L13conj_in_placeI19rocblas_complex_numIfEiPS3_TnNSt9enable_ifIX18rocblas_is_complexIT_EEiE4typeELi0EEEvT0_S9_T1_lS9_l.has_dyn_sized_stack, 0
	.set _ZN9rocsolver6v33100L13conj_in_placeI19rocblas_complex_numIfEiPS3_TnNSt9enable_ifIX18rocblas_is_complexIT_EEiE4typeELi0EEEvT0_S9_T1_lS9_l.has_recursion, 0
	.set _ZN9rocsolver6v33100L13conj_in_placeI19rocblas_complex_numIfEiPS3_TnNSt9enable_ifIX18rocblas_is_complexIT_EEiE4typeELi0EEEvT0_S9_T1_lS9_l.has_indirect_call, 0
	.section	.AMDGPU.csdata,"",@progbits
; Kernel info:
; codeLenInByte = 380
; TotalNumSgprs: 16
; NumVgprs: 6
; ScratchSize: 0
; MemoryBound: 0
; FloatMode: 240
; IeeeMode: 1
; LDSByteSize: 0 bytes/workgroup (compile time only)
; SGPRBlocks: 0
; VGPRBlocks: 0
; NumSGPRsForWavesPerEU: 16
; NumVGPRsForWavesPerEU: 6
; NamedBarCnt: 0
; Occupancy: 16
; WaveLimiterHint : 0
; COMPUTE_PGM_RSRC2:SCRATCH_EN: 0
; COMPUTE_PGM_RSRC2:USER_SGPR: 2
; COMPUTE_PGM_RSRC2:TRAP_HANDLER: 0
; COMPUTE_PGM_RSRC2:TGID_X_EN: 1
; COMPUTE_PGM_RSRC2:TGID_Y_EN: 1
; COMPUTE_PGM_RSRC2:TGID_Z_EN: 1
; COMPUTE_PGM_RSRC2:TIDIG_COMP_CNT: 1
	.section	.text._ZN9rocsolver6v33100L16larf_left_kernelILi1024E19rocblas_complex_numIfEiPKPS3_EEvT1_S7_T2_lS7_lPKT0_lS8_lS7_l,"axG",@progbits,_ZN9rocsolver6v33100L16larf_left_kernelILi1024E19rocblas_complex_numIfEiPKPS3_EEvT1_S7_T2_lS7_lPKT0_lS8_lS7_l,comdat
	.globl	_ZN9rocsolver6v33100L16larf_left_kernelILi1024E19rocblas_complex_numIfEiPKPS3_EEvT1_S7_T2_lS7_lPKT0_lS8_lS7_l ; -- Begin function _ZN9rocsolver6v33100L16larf_left_kernelILi1024E19rocblas_complex_numIfEiPKPS3_EEvT1_S7_T2_lS7_lPKT0_lS8_lS7_l
	.p2align	8
	.type	_ZN9rocsolver6v33100L16larf_left_kernelILi1024E19rocblas_complex_numIfEiPKPS3_EEvT1_S7_T2_lS7_lPKT0_lS8_lS7_l,@function
_ZN9rocsolver6v33100L16larf_left_kernelILi1024E19rocblas_complex_numIfEiPKPS3_EEvT1_S7_T2_lS7_lPKT0_lS8_lS7_l: ; @_ZN9rocsolver6v33100L16larf_left_kernelILi1024E19rocblas_complex_numIfEiPKPS3_EEvT1_S7_T2_lS7_lPKT0_lS8_lS7_l
; %bb.0:
	s_clause 0x1
	s_load_b32 s14, s[0:1], 0x48
	s_load_b256 s[4:11], s[0:1], 0x28
	s_bfe_u32 s2, ttmp6, 0x40010
	s_bfe_u32 s13, ttmp6, 0x40014
	s_and_b32 s17, ttmp7, 0xffff
	s_lshr_b32 s12, ttmp7, 16
	s_add_co_i32 s2, s2, 1
	s_add_co_i32 s13, s13, 1
	s_bfe_u32 s3, ttmp6, 0x40004
	s_bfe_u32 s18, ttmp6, 0x40008
	s_mul_i32 s2, s17, s2
	s_mul_i32 s13, s12, s13
	s_getreg_b32 s19, hwreg(HW_REG_IB_STS2, 6, 4)
	s_load_b32 s16, s[0:1], 0x0
	s_add_co_i32 s20, s3, s2
	s_add_co_i32 s18, s18, s13
	v_dual_mov_b32 v5, 0 :: v_dual_lshlrev_b32 v2, 3, v0
	s_mov_b32 s13, 0
	s_wait_kmcnt 0x0
	s_ashr_i32 s15, s14, 31
	s_cmp_eq_u32 s19, 0
	v_mov_b32_e32 v4, v5
	s_cselect_b32 s12, s12, s18
	s_load_b64 s[2:3], s[8:9], s12 offset:0x0 scale_offset
	s_wait_xcnt 0x0
	s_cselect_b32 s8, s17, s20
	s_mov_b32 s9, s13
	s_delay_alu instid0(SALU_CYCLE_1)
	s_mul_u64 s[8:9], s[8:9], s[14:15]
	v_cmp_gt_i32_e32 vcc_lo, s16, v0
	s_and_saveexec_b32 s17, vcc_lo
	s_cbranch_execz .LBB50_6
; %bb.1:
	s_clause 0x1
	s_load_b32 s14, s[0:1], 0x18
	s_load_b128 s[20:23], s[0:1], 0x8
	v_dual_mov_b32 v1, 0 :: v_dual_mov_b32 v6, v0
	s_sub_co_i32 s19, 1, s16
	s_wait_kmcnt 0x0
	s_ashr_i32 s15, s14, 31
	s_load_b64 s[0:1], s[20:21], s12 offset:0x0 scale_offset
	v_mul_u64_e32 v[4:5], s[14:15], v[0:1]
	v_cmp_lt_i64_e64 s18, s[14:15], 1
	s_mul_i32 s19, s14, s19
	v_add3_u32 v1, v2, 0, 0x100
	s_delay_alu instid0(VALU_DEP_1)
	v_mov_b32_e32 v3, v1
	s_and_b32 s18, s18, exec_lo
	s_cselect_b32 s18, s19, 0
	s_wait_xcnt 0x0
	s_lshl_b64 s[20:21], s[22:23], 3
	s_ashr_i32 s19, s18, 31
	s_lshl_b64 s[14:15], s[14:15], 13
	s_lshl_b64 s[18:19], s[18:19], 3
	s_wait_kmcnt 0x0
	s_add_nc_u64 s[0:1], s[0:1], s[18:19]
	s_delay_alu instid0(SALU_CYCLE_1) | instskip(NEXT) | instid1(SALU_CYCLE_1)
	s_add_nc_u64 s[0:1], s[0:1], s[20:21]
	v_lshl_add_u64 v[4:5], v[4:5], 3, s[0:1]
	s_mov_b32 s1, s13
.LBB50_2:                               ; =>This Inner Loop Header: Depth=1
	flat_load_b64 v[8:9], v[4:5]
	v_add_nc_u32_e32 v6, 0x400, v6
	s_wait_xcnt 0x0
	v_add_nc_u64_e32 v[4:5], s[14:15], v[4:5]
	s_delay_alu instid0(VALU_DEP_2)
	v_cmp_le_i32_e64 s0, s16, v6
	s_or_b32 s1, s0, s1
	s_wait_loadcnt_dscnt 0x0
	ds_store_b64 v3, v[8:9]
	v_add_nc_u32_e32 v3, 0x2000, v3
	s_and_not1_b32 exec_lo, exec_lo, s1
	s_cbranch_execnz .LBB50_2
; %bb.3:
	s_or_b32 exec_lo, exec_lo, s1
	s_lshl_b64 s[0:1], s[8:9], 3
	s_lshl_b64 s[14:15], s[10:11], 3
	v_dual_mov_b32 v5, 0 :: v_dual_lshlrev_b32 v4, 3, v0
	s_add_nc_u64 s[0:1], s[0:1], s[14:15]
	v_mov_b32_e32 v3, v0
	s_add_nc_u64 s[0:1], s[2:3], s[0:1]
	s_delay_alu instid0(VALU_DEP_2) | instid1(SALU_CYCLE_1)
	v_add_nc_u64_e32 v[6:7], s[0:1], v[4:5]
	v_mov_b32_e32 v4, v5
	s_mov_b32 s1, 0
	s_delay_alu instid0(VALU_DEP_2)
	v_add_nc_u64_e32 v[6:7], 4, v[6:7]
.LBB50_4:                               ; =>This Inner Loop Header: Depth=1
	flat_load_b64 v[8:9], v[6:7] offset:-4
	ds_load_b64 v[10:11], v1
	v_add_nc_u32_e32 v3, 0x400, v3
	s_wait_xcnt 0x0
	v_add_nc_u64_e32 v[6:7], 0x2000, v[6:7]
	v_add_nc_u32_e32 v1, 0x2000, v1
	s_delay_alu instid0(VALU_DEP_3) | instskip(SKIP_3) | instid1(VALU_DEP_1)
	v_cmp_le_i32_e64 s0, s16, v3
	s_or_b32 s1, s0, s1
	s_wait_loadcnt_dscnt 0x0
	v_pk_mul_f32 v[12:13], v[8:9], v[10:11] op_sel:[1,1] op_sel_hi:[1,0]
	v_pk_fma_f32 v[14:15], v[8:9], v[10:11], v[12:13] op_sel_hi:[0,1,1] neg_lo:[0,0,1] neg_hi:[0,0,1]
	v_pk_fma_f32 v[8:9], v[8:9], v[10:11], v[12:13]
	s_delay_alu instid0(VALU_DEP_2) | instskip(NEXT) | instid1(VALU_DEP_1)
	v_mov_b32_e32 v9, v15
	v_pk_add_f32 v[4:5], v[4:5], v[8:9]
	s_and_not1_b32 exec_lo, exec_lo, s1
	s_cbranch_execnz .LBB50_4
; %bb.5:
	s_or_b32 exec_lo, exec_lo, s1
.LBB50_6:
	s_delay_alu instid0(SALU_CYCLE_1) | instskip(SKIP_2) | instid1(VALU_DEP_1)
	s_or_b32 exec_lo, exec_lo, s17
	v_mbcnt_lo_u32_b32 v1, -1, 0
	s_mov_b32 s1, exec_lo
	v_cmp_ne_u32_e64 s0, 31, v1
	s_delay_alu instid0(VALU_DEP_1) | instskip(SKIP_1) | instid1(VALU_DEP_2)
	v_add_co_ci_u32_e64 v3, null, 0, v1, s0
	v_cmp_gt_u32_e64 s0, 30, v1
	v_lshlrev_b32_e32 v3, 2, v3
	ds_bpermute_b32 v6, v3, v4
	ds_bpermute_b32 v7, v3, v5
	v_cndmask_b32_e64 v3, 0, 2, s0
	v_cmp_gt_u32_e64 s0, 28, v1
	s_delay_alu instid0(VALU_DEP_2)
	v_add_lshl_u32 v3, v3, v1, 2
	s_wait_dscnt 0x0
	v_pk_add_f32 v[4:5], v[4:5], v[6:7]
	ds_bpermute_b32 v6, v3, v4
	ds_bpermute_b32 v7, v3, v5
	v_cndmask_b32_e64 v3, 0, 4, s0
	v_cmp_gt_u32_e64 s0, 24, v1
	s_delay_alu instid0(VALU_DEP_2)
	v_add_lshl_u32 v3, v3, v1, 2
	s_wait_dscnt 0x0
	v_pk_add_f32 v[4:5], v[4:5], v[6:7]
	ds_bpermute_b32 v6, v3, v4
	ds_bpermute_b32 v7, v3, v5
	v_cndmask_b32_e64 v3, 0, 8, s0
	s_delay_alu instid0(VALU_DEP_1)
	v_add_lshl_u32 v3, v3, v1, 2
	v_lshl_or_b32 v1, v1, 2, 64
	s_wait_dscnt 0x0
	v_pk_add_f32 v[4:5], v[4:5], v[6:7]
	ds_bpermute_b32 v6, v3, v4
	ds_bpermute_b32 v7, v3, v5
	s_wait_dscnt 0x0
	v_pk_add_f32 v[4:5], v[4:5], v[6:7]
	ds_bpermute_b32 v6, v1, v4
	ds_bpermute_b32 v7, v1, v5
	v_and_b32_e32 v1, 31, v0
	s_wait_dscnt 0x0
	v_pk_add_f32 v[4:5], v[4:5], v[6:7]
	s_delay_alu instid0(VALU_DEP_2)
	v_cmpx_eq_u32_e32 0, v1
; %bb.7:
	v_lshrrev_b32_e32 v1, 2, v0
	s_delay_alu instid0(VALU_DEP_1)
	v_add_nc_u32_e32 v1, 0, v1
	ds_store_2addr_b32 v1, v4, v5 offset1:1
; %bb.8:
	s_or_b32 exec_lo, exec_lo, s1
	s_delay_alu instid0(SALU_CYCLE_1)
	s_mov_b32 s1, exec_lo
	s_wait_dscnt 0x0
	s_barrier_signal -1
	s_barrier_wait -1
	v_cmpx_eq_u32_e32 0, v0
	s_cbranch_execz .LBB50_10
; %bb.9:
	v_mov_b32_e32 v1, 0
	ds_load_2addr_b64 v[6:9], v1 offset0:1 offset1:2
	ds_load_2addr_b64 v[10:13], v1 offset0:3 offset1:4
	;; [unrolled: 1-line block ×3, first 2 shown]
	s_wait_dscnt 0x2
	v_pk_add_f32 v[4:5], v[4:5], v[6:7]
	s_delay_alu instid0(VALU_DEP_1) | instskip(SKIP_3) | instid1(VALU_DEP_1)
	v_pk_add_f32 v[8:9], v[4:5], v[8:9]
	ds_load_2addr_b64 v[4:7], v1 offset0:7 offset1:8
	s_wait_dscnt 0x2
	v_pk_add_f32 v[8:9], v[8:9], v[10:11]
	v_pk_add_f32 v[12:13], v[8:9], v[12:13]
	ds_load_2addr_b64 v[8:11], v1 offset0:9 offset1:10
	s_wait_dscnt 0x2
	v_pk_add_f32 v[12:13], v[12:13], v[14:15]
	s_delay_alu instid0(VALU_DEP_1) | instskip(SKIP_3) | instid1(VALU_DEP_1)
	v_pk_add_f32 v[16:17], v[12:13], v[16:17]
	ds_load_2addr_b64 v[12:15], v1 offset0:11 offset1:12
	s_wait_dscnt 0x2
	v_pk_add_f32 v[4:5], v[16:17], v[4:5]
	v_pk_add_f32 v[16:17], v[4:5], v[6:7]
	ds_load_2addr_b64 v[4:7], v1 offset0:13 offset1:14
	;; [unrolled: 9-line block ×5, first 2 shown]
	s_wait_dscnt 0x2
	v_pk_add_f32 v[8:9], v[16:17], v[8:9]
	s_delay_alu instid0(VALU_DEP_1) | instskip(SKIP_3) | instid1(VALU_DEP_1)
	v_pk_add_f32 v[16:17], v[8:9], v[10:11]
	ds_load_2addr_b64 v[8:11], v1 offset0:27 offset1:28
	s_wait_dscnt 0x2
	v_pk_add_f32 v[12:13], v[16:17], v[12:13]
	v_pk_add_f32 v[12:13], v[12:13], v[14:15]
	s_wait_dscnt 0x1
	s_delay_alu instid0(VALU_DEP_1)
	v_pk_add_f32 v[4:5], v[12:13], v[4:5]
	ds_load_2addr_b64 v[12:15], v1 offset0:29 offset1:30
	v_pk_add_f32 v[4:5], v[4:5], v[6:7]
	ds_load_b64 v[6:7], v1 offset:248
	s_wait_dscnt 0x2
	v_pk_add_f32 v[4:5], v[4:5], v[8:9]
	s_delay_alu instid0(VALU_DEP_1) | instskip(SKIP_1) | instid1(VALU_DEP_1)
	v_pk_add_f32 v[4:5], v[4:5], v[10:11]
	s_wait_dscnt 0x1
	v_pk_add_f32 v[4:5], v[4:5], v[12:13]
	s_delay_alu instid0(VALU_DEP_1) | instskip(SKIP_1) | instid1(VALU_DEP_1)
	v_pk_add_f32 v[4:5], v[4:5], v[14:15]
	s_wait_dscnt 0x0
	v_pk_add_f32 v[4:5], v[4:5], v[6:7]
	ds_store_b64 v1, v[4:5]
.LBB50_10:
	s_or_b32 exec_lo, exec_lo, s1
	s_wait_dscnt 0x0
	s_barrier_signal -1
	s_barrier_wait -1
	s_and_saveexec_b32 s0, vcc_lo
	s_cbranch_execz .LBB50_13
; %bb.11:
	s_mul_u64 s[0:1], s[6:7], s[12:13]
	s_lshl_b64 s[6:7], s[10:11], 3
	s_lshl_b64 s[0:1], s[0:1], 3
	s_delay_alu instid0(SALU_CYCLE_1) | instskip(SKIP_4) | instid1(SALU_CYCLE_1)
	s_add_nc_u64 s[0:1], s[4:5], s[0:1]
	s_load_b64 s[4:5], s[0:1], 0x0
	v_mov_b32_e32 v3, 0
	s_wait_xcnt 0x0
	s_lshl_b64 s[0:1], s[8:9], 3
	s_add_nc_u64 s[0:1], s[0:1], s[6:7]
	ds_load_b64 v[8:9], v3
	s_wait_kmcnt 0x0
	s_add_nc_u64 s[0:1], s[2:3], s[0:1]
	s_wait_dscnt 0x0
	v_mul_f32_e32 v1, s5, v8
	s_delay_alu instid0(VALU_DEP_1) | instskip(SKIP_3) | instid1(VALU_DEP_3)
	v_xor_b32_e32 v4, 0x80000000, v1
	v_mul_f32_e32 v5, s5, v9
	s_xor_b32 s5, s4, 0x80000000
	v_add3_u32 v1, v2, 0, 0x100
	v_fmac_f32_e32 v4, s4, v9
	s_delay_alu instid0(VALU_DEP_3) | instskip(NEXT) | instid1(VALU_DEP_1)
	v_xor_b32_e32 v6, 0x80000000, v5
	v_dual_mov_b32 v5, v4 :: v_dual_fmac_f32 v6, s5, v8
	v_add_nc_u64_e32 v[8:9], s[0:1], v[2:3]
	s_mov_b32 s0, 0
	s_delay_alu instid0(VALU_DEP_2)
	v_mov_b32_e32 v7, v6
.LBB50_12:                              ; =>This Inner Loop Header: Depth=1
	flat_load_b64 v[2:3], v[8:9]
	ds_load_b64 v[10:11], v1
	v_add_nc_u32_e32 v1, 0x2000, v1
	v_add_nc_u32_e32 v0, 0x400, v0
	s_delay_alu instid0(VALU_DEP_1) | instskip(SKIP_3) | instid1(VALU_DEP_1)
	v_cmp_le_i32_e32 vcc_lo, s16, v0
	s_or_b32 s0, vcc_lo, s0
	s_wait_dscnt 0x0
	v_pk_mul_f32 v[12:13], v[4:5], v[10:11] op_sel:[0,1] op_sel_hi:[1,0]
	v_pk_fma_f32 v[14:15], v[6:7], v[10:11], v[12:13]
	v_pk_fma_f32 v[10:11], v[6:7], v[10:11], v[12:13] neg_lo:[0,0,1] neg_hi:[0,0,1]
	s_delay_alu instid0(VALU_DEP_2) | instskip(SKIP_1) | instid1(VALU_DEP_1)
	v_mov_b32_e32 v11, v15
	s_wait_loadcnt 0x0
	v_pk_add_f32 v[2:3], v[2:3], v[10:11]
	flat_store_b64 v[8:9], v[2:3]
	s_wait_xcnt 0x0
	v_add_nc_u64_e32 v[8:9], 0x2000, v[8:9]
	s_and_not1_b32 exec_lo, exec_lo, s0
	s_cbranch_execnz .LBB50_12
.LBB50_13:
	s_endpgm
	.section	.rodata,"a",@progbits
	.p2align	6, 0x0
	.amdhsa_kernel _ZN9rocsolver6v33100L16larf_left_kernelILi1024E19rocblas_complex_numIfEiPKPS3_EEvT1_S7_T2_lS7_lPKT0_lS8_lS7_l
		.amdhsa_group_segment_fixed_size 0
		.amdhsa_private_segment_fixed_size 0
		.amdhsa_kernarg_size 88
		.amdhsa_user_sgpr_count 2
		.amdhsa_user_sgpr_dispatch_ptr 0
		.amdhsa_user_sgpr_queue_ptr 0
		.amdhsa_user_sgpr_kernarg_segment_ptr 1
		.amdhsa_user_sgpr_dispatch_id 0
		.amdhsa_user_sgpr_kernarg_preload_length 0
		.amdhsa_user_sgpr_kernarg_preload_offset 0
		.amdhsa_user_sgpr_private_segment_size 0
		.amdhsa_wavefront_size32 1
		.amdhsa_uses_dynamic_stack 0
		.amdhsa_enable_private_segment 0
		.amdhsa_system_sgpr_workgroup_id_x 1
		.amdhsa_system_sgpr_workgroup_id_y 1
		.amdhsa_system_sgpr_workgroup_id_z 1
		.amdhsa_system_sgpr_workgroup_info 0
		.amdhsa_system_vgpr_workitem_id 0
		.amdhsa_next_free_vgpr 18
		.amdhsa_next_free_sgpr 24
		.amdhsa_named_barrier_count 0
		.amdhsa_reserve_vcc 1
		.amdhsa_float_round_mode_32 0
		.amdhsa_float_round_mode_16_64 0
		.amdhsa_float_denorm_mode_32 3
		.amdhsa_float_denorm_mode_16_64 3
		.amdhsa_fp16_overflow 0
		.amdhsa_memory_ordered 1
		.amdhsa_forward_progress 1
		.amdhsa_inst_pref_size 14
		.amdhsa_round_robin_scheduling 0
		.amdhsa_exception_fp_ieee_invalid_op 0
		.amdhsa_exception_fp_denorm_src 0
		.amdhsa_exception_fp_ieee_div_zero 0
		.amdhsa_exception_fp_ieee_overflow 0
		.amdhsa_exception_fp_ieee_underflow 0
		.amdhsa_exception_fp_ieee_inexact 0
		.amdhsa_exception_int_div_zero 0
	.end_amdhsa_kernel
	.section	.text._ZN9rocsolver6v33100L16larf_left_kernelILi1024E19rocblas_complex_numIfEiPKPS3_EEvT1_S7_T2_lS7_lPKT0_lS8_lS7_l,"axG",@progbits,_ZN9rocsolver6v33100L16larf_left_kernelILi1024E19rocblas_complex_numIfEiPKPS3_EEvT1_S7_T2_lS7_lPKT0_lS8_lS7_l,comdat
.Lfunc_end50:
	.size	_ZN9rocsolver6v33100L16larf_left_kernelILi1024E19rocblas_complex_numIfEiPKPS3_EEvT1_S7_T2_lS7_lPKT0_lS8_lS7_l, .Lfunc_end50-_ZN9rocsolver6v33100L16larf_left_kernelILi1024E19rocblas_complex_numIfEiPKPS3_EEvT1_S7_T2_lS7_lPKT0_lS8_lS7_l
                                        ; -- End function
	.set _ZN9rocsolver6v33100L16larf_left_kernelILi1024E19rocblas_complex_numIfEiPKPS3_EEvT1_S7_T2_lS7_lPKT0_lS8_lS7_l.num_vgpr, 18
	.set _ZN9rocsolver6v33100L16larf_left_kernelILi1024E19rocblas_complex_numIfEiPKPS3_EEvT1_S7_T2_lS7_lPKT0_lS8_lS7_l.num_agpr, 0
	.set _ZN9rocsolver6v33100L16larf_left_kernelILi1024E19rocblas_complex_numIfEiPKPS3_EEvT1_S7_T2_lS7_lPKT0_lS8_lS7_l.numbered_sgpr, 24
	.set _ZN9rocsolver6v33100L16larf_left_kernelILi1024E19rocblas_complex_numIfEiPKPS3_EEvT1_S7_T2_lS7_lPKT0_lS8_lS7_l.num_named_barrier, 0
	.set _ZN9rocsolver6v33100L16larf_left_kernelILi1024E19rocblas_complex_numIfEiPKPS3_EEvT1_S7_T2_lS7_lPKT0_lS8_lS7_l.private_seg_size, 0
	.set _ZN9rocsolver6v33100L16larf_left_kernelILi1024E19rocblas_complex_numIfEiPKPS3_EEvT1_S7_T2_lS7_lPKT0_lS8_lS7_l.uses_vcc, 1
	.set _ZN9rocsolver6v33100L16larf_left_kernelILi1024E19rocblas_complex_numIfEiPKPS3_EEvT1_S7_T2_lS7_lPKT0_lS8_lS7_l.uses_flat_scratch, 0
	.set _ZN9rocsolver6v33100L16larf_left_kernelILi1024E19rocblas_complex_numIfEiPKPS3_EEvT1_S7_T2_lS7_lPKT0_lS8_lS7_l.has_dyn_sized_stack, 0
	.set _ZN9rocsolver6v33100L16larf_left_kernelILi1024E19rocblas_complex_numIfEiPKPS3_EEvT1_S7_T2_lS7_lPKT0_lS8_lS7_l.has_recursion, 0
	.set _ZN9rocsolver6v33100L16larf_left_kernelILi1024E19rocblas_complex_numIfEiPKPS3_EEvT1_S7_T2_lS7_lPKT0_lS8_lS7_l.has_indirect_call, 0
	.section	.AMDGPU.csdata,"",@progbits
; Kernel info:
; codeLenInByte = 1688
; TotalNumSgprs: 26
; NumVgprs: 18
; ScratchSize: 0
; MemoryBound: 0
; FloatMode: 240
; IeeeMode: 1
; LDSByteSize: 0 bytes/workgroup (compile time only)
; SGPRBlocks: 0
; VGPRBlocks: 1
; NumSGPRsForWavesPerEU: 26
; NumVGPRsForWavesPerEU: 18
; NamedBarCnt: 0
; Occupancy: 16
; WaveLimiterHint : 0
; COMPUTE_PGM_RSRC2:SCRATCH_EN: 0
; COMPUTE_PGM_RSRC2:USER_SGPR: 2
; COMPUTE_PGM_RSRC2:TRAP_HANDLER: 0
; COMPUTE_PGM_RSRC2:TGID_X_EN: 1
; COMPUTE_PGM_RSRC2:TGID_Y_EN: 1
; COMPUTE_PGM_RSRC2:TGID_Z_EN: 1
; COMPUTE_PGM_RSRC2:TIDIG_COMP_CNT: 0
	.section	.text._ZN9rocsolver6v33100L17larf_right_kernelILi1024E19rocblas_complex_numIfEiPKPS3_EEvT1_S7_T2_lS7_lPKT0_lS8_lS7_l,"axG",@progbits,_ZN9rocsolver6v33100L17larf_right_kernelILi1024E19rocblas_complex_numIfEiPKPS3_EEvT1_S7_T2_lS7_lPKT0_lS8_lS7_l,comdat
	.globl	_ZN9rocsolver6v33100L17larf_right_kernelILi1024E19rocblas_complex_numIfEiPKPS3_EEvT1_S7_T2_lS7_lPKT0_lS8_lS7_l ; -- Begin function _ZN9rocsolver6v33100L17larf_right_kernelILi1024E19rocblas_complex_numIfEiPKPS3_EEvT1_S7_T2_lS7_lPKT0_lS8_lS7_l
	.p2align	8
	.type	_ZN9rocsolver6v33100L17larf_right_kernelILi1024E19rocblas_complex_numIfEiPKPS3_EEvT1_S7_T2_lS7_lPKT0_lS8_lS7_l,@function
_ZN9rocsolver6v33100L17larf_right_kernelILi1024E19rocblas_complex_numIfEiPKPS3_EEvT1_S7_T2_lS7_lPKT0_lS8_lS7_l: ; @_ZN9rocsolver6v33100L17larf_right_kernelILi1024E19rocblas_complex_numIfEiPKPS3_EEvT1_S7_T2_lS7_lPKT0_lS8_lS7_l
; %bb.0:
	s_load_b256 s[4:11], s[0:1], 0x28
	s_bfe_u32 s2, ttmp6, 0x40010
	s_and_b32 s3, ttmp7, 0xffff
	s_add_co_i32 s2, s2, 1
	s_bfe_u32 s13, ttmp6, 0x40014
	s_mul_i32 s2, s3, s2
	s_bfe_u32 s12, ttmp6, 0x40004
	s_lshr_b32 s14, ttmp7, 16
	s_add_co_i32 s13, s13, 1
	s_add_co_i32 s17, s12, s2
	s_mul_i32 s2, s14, s13
	s_bfe_u32 s12, ttmp6, 0x40008
	s_load_b32 s16, s[0:1], 0x4
	s_getreg_b32 s13, hwreg(HW_REG_IB_STS2, 6, 4)
	s_add_co_i32 s12, s12, s2
	s_cmp_eq_u32 s13, 0
	v_dual_mov_b32 v3, 0 :: v_dual_lshlrev_b32 v6, 3, v0
	s_cselect_b32 s14, s14, s12
	s_load_b32 s2, s[0:1], 0x48
	s_wait_kmcnt 0x0
	s_load_b64 s[12:13], s[8:9], s14 offset:0x0 scale_offset
	s_mov_b32 s15, 0
	v_mov_b32_e32 v2, v3
	s_cselect_b32 s17, s3, s17
	v_cmp_gt_i32_e32 vcc_lo, s16, v0
	s_and_saveexec_b32 s18, vcc_lo
	s_cbranch_execz .LBB51_6
; %bb.1:
	s_wait_xcnt 0x0
	s_clause 0x1
	s_load_b32 s8, s[0:1], 0x18
	s_load_b128 s[20:23], s[0:1], 0x8
	v_add3_u32 v7, v6, 0, 0x100
	v_mov_b32_e32 v1, 0
	s_sub_co_i32 s19, 1, s16
	s_delay_alu instid0(VALU_DEP_2)
	v_dual_mov_b32 v5, v0 :: v_dual_mov_b32 v4, v7
	s_wait_kmcnt 0x0
	s_ashr_i32 s9, s8, 31
	s_load_b64 s[0:1], s[20:21], s14 offset:0x0 scale_offset
	v_mul_u64_e32 v[2:3], s[8:9], v[0:1]
	v_cmp_lt_i64_e64 s3, s[8:9], 1
	s_mul_i32 s19, s8, s19
	s_and_b32 s3, s3, exec_lo
	s_wait_xcnt 0x0
	s_cselect_b32 s20, s19, 0
	s_lshl_b64 s[22:23], s[22:23], 3
	s_ashr_i32 s21, s20, 31
	s_lshl_b64 s[8:9], s[8:9], 13
	s_lshl_b64 s[20:21], s[20:21], 3
	s_wait_kmcnt 0x0
	s_add_nc_u64 s[0:1], s[0:1], s[20:21]
	s_delay_alu instid0(SALU_CYCLE_1) | instskip(NEXT) | instid1(SALU_CYCLE_1)
	s_add_nc_u64 s[0:1], s[0:1], s[22:23]
	v_lshl_add_u64 v[2:3], v[2:3], 3, s[0:1]
	s_mov_b32 s1, s15
.LBB51_2:                               ; =>This Inner Loop Header: Depth=1
	flat_load_b64 v[8:9], v[2:3]
	v_add_nc_u32_e32 v5, 0x400, v5
	s_wait_xcnt 0x0
	v_add_nc_u64_e32 v[2:3], s[8:9], v[2:3]
	s_delay_alu instid0(VALU_DEP_2)
	v_cmp_le_i32_e64 s0, s16, v5
	s_or_b32 s1, s0, s1
	s_wait_loadcnt_dscnt 0x0
	ds_store_b64 v4, v[8:9]
	v_add_nc_u32_e32 v4, 0x2000, v4
	s_and_not1_b32 exec_lo, exec_lo, s1
	s_cbranch_execnz .LBB51_2
; %bb.3:
	s_or_b32 exec_lo, exec_lo, s1
	s_ashr_i32 s3, s2, 31
	s_lshl_b32 s0, s17, 3
	v_mul_u64_e32 v[4:5], s[2:3], v[0:1]
	s_mov_b32 s1, 0
	v_dual_mov_b32 v2, 0 :: v_dual_mov_b32 v1, v0
	s_lshl_b64 s[8:9], s[10:11], 3
	s_add_nc_u64 s[20:21], s[12:13], s[0:1]
	s_delay_alu instid0(SALU_CYCLE_1) | instskip(NEXT) | instid1(VALU_DEP_1)
	s_add_nc_u64 s[8:9], s[20:21], s[8:9]
	v_mov_b32_e32 v3, v2
	s_delay_alu instid0(VALU_DEP_3)
	v_lshl_add_u64 v[4:5], v[4:5], 3, s[8:9]
	s_lshl_b64 s[8:9], s[2:3], 13
.LBB51_4:                               ; =>This Inner Loop Header: Depth=1
	flat_load_b64 v[8:9], v[4:5]
	ds_load_b64 v[10:11], v7
	v_add_nc_u32_e32 v1, 0x400, v1
	s_wait_xcnt 0x0
	v_add_nc_u64_e32 v[4:5], s[8:9], v[4:5]
	v_add_nc_u32_e32 v7, 0x2000, v7
	s_delay_alu instid0(VALU_DEP_3) | instskip(SKIP_3) | instid1(VALU_DEP_1)
	v_cmp_le_i32_e64 s0, s16, v1
	s_or_b32 s1, s0, s1
	s_wait_loadcnt_dscnt 0x0
	v_pk_mul_f32 v[12:13], v[10:11], v[8:9] op_sel:[1,1] op_sel_hi:[0,1]
	v_pk_fma_f32 v[14:15], v[10:11], v[8:9], v[12:13] op_sel_hi:[1,0,1]
	v_pk_fma_f32 v[8:9], v[10:11], v[8:9], v[12:13] neg_lo:[0,0,1] neg_hi:[0,0,1]
	s_delay_alu instid0(VALU_DEP_2) | instskip(NEXT) | instid1(VALU_DEP_1)
	v_mov_b32_e32 v9, v15
	v_pk_add_f32 v[2:3], v[2:3], v[8:9]
	s_and_not1_b32 exec_lo, exec_lo, s1
	s_cbranch_execnz .LBB51_4
; %bb.5:
	s_or_b32 exec_lo, exec_lo, s1
.LBB51_6:
	s_delay_alu instid0(SALU_CYCLE_1) | instskip(SKIP_2) | instid1(VALU_DEP_1)
	s_or_b32 exec_lo, exec_lo, s18
	v_mbcnt_lo_u32_b32 v1, -1, 0
	s_mov_b32 s1, exec_lo
	v_cmp_ne_u32_e64 s0, 31, v1
	s_delay_alu instid0(VALU_DEP_1) | instskip(SKIP_1) | instid1(VALU_DEP_2)
	v_add_co_ci_u32_e64 v4, null, 0, v1, s0
	v_cmp_gt_u32_e64 s0, 30, v1
	v_lshlrev_b32_e32 v5, 2, v4
	s_delay_alu instid0(VALU_DEP_2)
	v_cndmask_b32_e64 v7, 0, 2, s0
	v_cmp_gt_u32_e64 s0, 28, v1
	ds_bpermute_b32 v4, v5, v2
	ds_bpermute_b32 v5, v5, v3
	v_add_lshl_u32 v7, v7, v1, 2
	s_wait_dscnt 0x0
	v_pk_add_f32 v[2:3], v[2:3], v[4:5]
	ds_bpermute_b32 v4, v7, v2
	ds_bpermute_b32 v5, v7, v3
	v_cndmask_b32_e64 v7, 0, 4, s0
	v_cmp_gt_u32_e64 s0, 24, v1
	s_delay_alu instid0(VALU_DEP_2)
	v_add_lshl_u32 v7, v7, v1, 2
	s_wait_dscnt 0x0
	v_pk_add_f32 v[2:3], v[2:3], v[4:5]
	ds_bpermute_b32 v4, v7, v2
	ds_bpermute_b32 v5, v7, v3
	v_cndmask_b32_e64 v7, 0, 8, s0
	s_delay_alu instid0(VALU_DEP_1)
	v_add_lshl_u32 v7, v7, v1, 2
	v_lshl_or_b32 v1, v1, 2, 64
	s_wait_dscnt 0x0
	v_pk_add_f32 v[2:3], v[2:3], v[4:5]
	ds_bpermute_b32 v4, v7, v2
	ds_bpermute_b32 v5, v7, v3
	s_wait_dscnt 0x0
	v_pk_add_f32 v[2:3], v[2:3], v[4:5]
	ds_bpermute_b32 v4, v1, v2
	ds_bpermute_b32 v5, v1, v3
	v_and_b32_e32 v1, 31, v0
	s_wait_dscnt 0x0
	v_pk_add_f32 v[2:3], v[2:3], v[4:5]
	s_delay_alu instid0(VALU_DEP_2)
	v_cmpx_eq_u32_e32 0, v1
; %bb.7:
	v_lshrrev_b32_e32 v1, 2, v0
	s_delay_alu instid0(VALU_DEP_1)
	v_add_nc_u32_e32 v1, 0, v1
	ds_store_2addr_b32 v1, v2, v3 offset1:1
; %bb.8:
	s_or_b32 exec_lo, exec_lo, s1
	s_delay_alu instid0(SALU_CYCLE_1)
	s_mov_b32 s1, exec_lo
	s_wait_dscnt 0x0
	s_barrier_signal -1
	s_barrier_wait -1
	v_cmpx_eq_u32_e32 0, v0
	s_cbranch_execz .LBB51_10
; %bb.9:
	v_mov_b32_e32 v1, 0
	ds_load_2addr_b64 v[8:11], v1 offset0:1 offset1:2
	ds_load_2addr_b64 v[12:15], v1 offset0:3 offset1:4
	;; [unrolled: 1-line block ×3, first 2 shown]
	s_wait_dscnt 0x2
	v_pk_add_f32 v[2:3], v[2:3], v[8:9]
	s_delay_alu instid0(VALU_DEP_1) | instskip(SKIP_3) | instid1(VALU_DEP_1)
	v_pk_add_f32 v[8:9], v[2:3], v[10:11]
	ds_load_2addr_b64 v[2:5], v1 offset0:7 offset1:8
	s_wait_dscnt 0x2
	v_pk_add_f32 v[8:9], v[8:9], v[12:13]
	v_pk_add_f32 v[12:13], v[8:9], v[14:15]
	ds_load_2addr_b64 v[8:11], v1 offset0:9 offset1:10
	s_wait_dscnt 0x2
	v_pk_add_f32 v[12:13], v[12:13], v[16:17]
	s_delay_alu instid0(VALU_DEP_1) | instskip(SKIP_3) | instid1(VALU_DEP_1)
	v_pk_add_f32 v[16:17], v[12:13], v[18:19]
	ds_load_2addr_b64 v[12:15], v1 offset0:11 offset1:12
	s_wait_dscnt 0x2
	v_pk_add_f32 v[2:3], v[16:17], v[2:3]
	v_pk_add_f32 v[16:17], v[2:3], v[4:5]
	ds_load_2addr_b64 v[2:5], v1 offset0:13 offset1:14
	s_wait_dscnt 0x2
	v_pk_add_f32 v[8:9], v[16:17], v[8:9]
	s_delay_alu instid0(VALU_DEP_1) | instskip(SKIP_3) | instid1(VALU_DEP_1)
	v_pk_add_f32 v[16:17], v[8:9], v[10:11]
	ds_load_2addr_b64 v[8:11], v1 offset0:15 offset1:16
	s_wait_dscnt 0x2
	v_pk_add_f32 v[12:13], v[16:17], v[12:13]
	v_pk_add_f32 v[16:17], v[12:13], v[14:15]
	ds_load_2addr_b64 v[12:15], v1 offset0:17 offset1:18
	s_wait_dscnt 0x2
	v_pk_add_f32 v[2:3], v[16:17], v[2:3]
	s_delay_alu instid0(VALU_DEP_1) | instskip(SKIP_3) | instid1(VALU_DEP_1)
	v_pk_add_f32 v[16:17], v[2:3], v[4:5]
	ds_load_2addr_b64 v[2:5], v1 offset0:19 offset1:20
	s_wait_dscnt 0x2
	v_pk_add_f32 v[8:9], v[16:17], v[8:9]
	v_pk_add_f32 v[16:17], v[8:9], v[10:11]
	ds_load_2addr_b64 v[8:11], v1 offset0:21 offset1:22
	s_wait_dscnt 0x2
	v_pk_add_f32 v[12:13], v[16:17], v[12:13]
	s_delay_alu instid0(VALU_DEP_1) | instskip(SKIP_3) | instid1(VALU_DEP_1)
	v_pk_add_f32 v[16:17], v[12:13], v[14:15]
	ds_load_2addr_b64 v[12:15], v1 offset0:23 offset1:24
	s_wait_dscnt 0x2
	v_pk_add_f32 v[2:3], v[16:17], v[2:3]
	v_pk_add_f32 v[16:17], v[2:3], v[4:5]
	ds_load_2addr_b64 v[2:5], v1 offset0:25 offset1:26
	s_wait_dscnt 0x2
	v_pk_add_f32 v[8:9], v[16:17], v[8:9]
	s_delay_alu instid0(VALU_DEP_1) | instskip(SKIP_3) | instid1(VALU_DEP_1)
	v_pk_add_f32 v[16:17], v[8:9], v[10:11]
	ds_load_2addr_b64 v[8:11], v1 offset0:27 offset1:28
	s_wait_dscnt 0x2
	v_pk_add_f32 v[12:13], v[16:17], v[12:13]
	v_pk_add_f32 v[12:13], v[12:13], v[14:15]
	s_wait_dscnt 0x1
	s_delay_alu instid0(VALU_DEP_1)
	v_pk_add_f32 v[2:3], v[12:13], v[2:3]
	ds_load_2addr_b64 v[12:15], v1 offset0:29 offset1:30
	v_pk_add_f32 v[2:3], v[2:3], v[4:5]
	ds_load_b64 v[4:5], v1 offset:248
	s_wait_dscnt 0x2
	v_pk_add_f32 v[2:3], v[2:3], v[8:9]
	s_delay_alu instid0(VALU_DEP_1) | instskip(SKIP_1) | instid1(VALU_DEP_1)
	v_pk_add_f32 v[2:3], v[2:3], v[10:11]
	s_wait_dscnt 0x1
	v_pk_add_f32 v[2:3], v[2:3], v[12:13]
	s_delay_alu instid0(VALU_DEP_1) | instskip(SKIP_1) | instid1(VALU_DEP_1)
	v_pk_add_f32 v[2:3], v[2:3], v[14:15]
	s_wait_dscnt 0x0
	v_pk_add_f32 v[2:3], v[2:3], v[4:5]
	ds_store_b64 v1, v[2:3]
.LBB51_10:
	s_or_b32 exec_lo, exec_lo, s1
	s_wait_dscnt 0x0
	s_barrier_signal -1
	s_barrier_wait -1
	s_and_saveexec_b32 s0, vcc_lo
	s_cbranch_execz .LBB51_13
; %bb.11:
	s_mul_u64 s[0:1], s[6:7], s[14:15]
	s_ashr_i32 s3, s2, 31
	s_lshl_b64 s[0:1], s[0:1], 3
	s_lshl_b64 s[6:7], s[10:11], 3
	s_add_nc_u64 s[0:1], s[4:5], s[0:1]
	s_load_b64 s[4:5], s[0:1], 0x0
	v_mov_b32_e32 v1, 0
	s_wait_xcnt 0x0
	s_mov_b32 s1, 0
	s_lshl_b32 s0, s17, 3
	ds_load_b64 v[8:9], v1
	s_wait_dscnt 0x0
	s_wait_kmcnt 0x0
	v_mul_f32_e32 v3, s4, v9
	v_mul_u64_e32 v[10:11], s[2:3], v[0:1]
	v_mul_f32_e32 v1, s4, v8
	s_xor_b32 s4, s5, 0x80000000
	s_lshl_b64 s[2:3], s[2:3], 13
	v_xor_b32_e32 v4, 0x80000000, v3
	s_delay_alu instid0(VALU_DEP_2) | instskip(SKIP_1) | instid1(VALU_DEP_2)
	v_xor_b32_e32 v2, 0x80000000, v1
	v_add3_u32 v1, v6, 0, 0x100
	v_dual_fmac_f32 v2, s5, v9 :: v_dual_fmac_f32 v4, s4, v8
	s_add_nc_u64 s[4:5], s[12:13], s[0:1]
	s_delay_alu instid0(SALU_CYCLE_1) | instskip(NEXT) | instid1(VALU_DEP_1)
	s_add_nc_u64 s[4:5], s[4:5], s[6:7]
	v_dual_mov_b32 v3, v2 :: v_dual_mov_b32 v5, v4
	v_lshl_add_u64 v[6:7], v[10:11], 3, s[4:5]
.LBB51_12:                              ; =>This Inner Loop Header: Depth=1
	flat_load_b64 v[8:9], v[6:7]
	ds_load_b64 v[10:11], v1
	v_add_nc_u32_e32 v1, 0x2000, v1
	v_add_nc_u32_e32 v0, 0x400, v0
	s_delay_alu instid0(VALU_DEP_1) | instskip(SKIP_3) | instid1(VALU_DEP_1)
	v_cmp_le_i32_e32 vcc_lo, s16, v0
	s_or_b32 s1, vcc_lo, s1
	s_wait_dscnt 0x0
	v_pk_mul_f32 v[12:13], v[2:3], v[10:11]
	v_pk_fma_f32 v[14:15], v[4:5], v[10:11], v[12:13] op_sel:[0,1,0] op_sel_hi:[1,0,1] neg_lo:[0,0,1] neg_hi:[0,0,1]
	v_pk_fma_f32 v[10:11], v[4:5], v[10:11], v[12:13] op_sel:[0,1,0] op_sel_hi:[1,0,1]
	s_delay_alu instid0(VALU_DEP_2) | instskip(SKIP_1) | instid1(VALU_DEP_1)
	v_mov_b32_e32 v11, v15
	s_wait_loadcnt 0x0
	v_pk_add_f32 v[8:9], v[8:9], v[10:11]
	flat_store_b64 v[6:7], v[8:9]
	s_wait_xcnt 0x0
	v_add_nc_u64_e32 v[6:7], s[2:3], v[6:7]
	s_and_not1_b32 exec_lo, exec_lo, s1
	s_cbranch_execnz .LBB51_12
.LBB51_13:
	s_endpgm
	.section	.rodata,"a",@progbits
	.p2align	6, 0x0
	.amdhsa_kernel _ZN9rocsolver6v33100L17larf_right_kernelILi1024E19rocblas_complex_numIfEiPKPS3_EEvT1_S7_T2_lS7_lPKT0_lS8_lS7_l
		.amdhsa_group_segment_fixed_size 0
		.amdhsa_private_segment_fixed_size 0
		.amdhsa_kernarg_size 88
		.amdhsa_user_sgpr_count 2
		.amdhsa_user_sgpr_dispatch_ptr 0
		.amdhsa_user_sgpr_queue_ptr 0
		.amdhsa_user_sgpr_kernarg_segment_ptr 1
		.amdhsa_user_sgpr_dispatch_id 0
		.amdhsa_user_sgpr_kernarg_preload_length 0
		.amdhsa_user_sgpr_kernarg_preload_offset 0
		.amdhsa_user_sgpr_private_segment_size 0
		.amdhsa_wavefront_size32 1
		.amdhsa_uses_dynamic_stack 0
		.amdhsa_enable_private_segment 0
		.amdhsa_system_sgpr_workgroup_id_x 1
		.amdhsa_system_sgpr_workgroup_id_y 1
		.amdhsa_system_sgpr_workgroup_id_z 1
		.amdhsa_system_sgpr_workgroup_info 0
		.amdhsa_system_vgpr_workitem_id 0
		.amdhsa_next_free_vgpr 20
		.amdhsa_next_free_sgpr 24
		.amdhsa_named_barrier_count 0
		.amdhsa_reserve_vcc 1
		.amdhsa_float_round_mode_32 0
		.amdhsa_float_round_mode_16_64 0
		.amdhsa_float_denorm_mode_32 3
		.amdhsa_float_denorm_mode_16_64 3
		.amdhsa_fp16_overflow 0
		.amdhsa_memory_ordered 1
		.amdhsa_forward_progress 1
		.amdhsa_inst_pref_size 14
		.amdhsa_round_robin_scheduling 0
		.amdhsa_exception_fp_ieee_invalid_op 0
		.amdhsa_exception_fp_denorm_src 0
		.amdhsa_exception_fp_ieee_div_zero 0
		.amdhsa_exception_fp_ieee_overflow 0
		.amdhsa_exception_fp_ieee_underflow 0
		.amdhsa_exception_fp_ieee_inexact 0
		.amdhsa_exception_int_div_zero 0
	.end_amdhsa_kernel
	.section	.text._ZN9rocsolver6v33100L17larf_right_kernelILi1024E19rocblas_complex_numIfEiPKPS3_EEvT1_S7_T2_lS7_lPKT0_lS8_lS7_l,"axG",@progbits,_ZN9rocsolver6v33100L17larf_right_kernelILi1024E19rocblas_complex_numIfEiPKPS3_EEvT1_S7_T2_lS7_lPKT0_lS8_lS7_l,comdat
.Lfunc_end51:
	.size	_ZN9rocsolver6v33100L17larf_right_kernelILi1024E19rocblas_complex_numIfEiPKPS3_EEvT1_S7_T2_lS7_lPKT0_lS8_lS7_l, .Lfunc_end51-_ZN9rocsolver6v33100L17larf_right_kernelILi1024E19rocblas_complex_numIfEiPKPS3_EEvT1_S7_T2_lS7_lPKT0_lS8_lS7_l
                                        ; -- End function
	.set _ZN9rocsolver6v33100L17larf_right_kernelILi1024E19rocblas_complex_numIfEiPKPS3_EEvT1_S7_T2_lS7_lPKT0_lS8_lS7_l.num_vgpr, 20
	.set _ZN9rocsolver6v33100L17larf_right_kernelILi1024E19rocblas_complex_numIfEiPKPS3_EEvT1_S7_T2_lS7_lPKT0_lS8_lS7_l.num_agpr, 0
	.set _ZN9rocsolver6v33100L17larf_right_kernelILi1024E19rocblas_complex_numIfEiPKPS3_EEvT1_S7_T2_lS7_lPKT0_lS8_lS7_l.numbered_sgpr, 24
	.set _ZN9rocsolver6v33100L17larf_right_kernelILi1024E19rocblas_complex_numIfEiPKPS3_EEvT1_S7_T2_lS7_lPKT0_lS8_lS7_l.num_named_barrier, 0
	.set _ZN9rocsolver6v33100L17larf_right_kernelILi1024E19rocblas_complex_numIfEiPKPS3_EEvT1_S7_T2_lS7_lPKT0_lS8_lS7_l.private_seg_size, 0
	.set _ZN9rocsolver6v33100L17larf_right_kernelILi1024E19rocblas_complex_numIfEiPKPS3_EEvT1_S7_T2_lS7_lPKT0_lS8_lS7_l.uses_vcc, 1
	.set _ZN9rocsolver6v33100L17larf_right_kernelILi1024E19rocblas_complex_numIfEiPKPS3_EEvT1_S7_T2_lS7_lPKT0_lS8_lS7_l.uses_flat_scratch, 0
	.set _ZN9rocsolver6v33100L17larf_right_kernelILi1024E19rocblas_complex_numIfEiPKPS3_EEvT1_S7_T2_lS7_lPKT0_lS8_lS7_l.has_dyn_sized_stack, 0
	.set _ZN9rocsolver6v33100L17larf_right_kernelILi1024E19rocblas_complex_numIfEiPKPS3_EEvT1_S7_T2_lS7_lPKT0_lS8_lS7_l.has_recursion, 0
	.set _ZN9rocsolver6v33100L17larf_right_kernelILi1024E19rocblas_complex_numIfEiPKPS3_EEvT1_S7_T2_lS7_lPKT0_lS8_lS7_l.has_indirect_call, 0
	.section	.AMDGPU.csdata,"",@progbits
; Kernel info:
; codeLenInByte = 1684
; TotalNumSgprs: 26
; NumVgprs: 20
; ScratchSize: 0
; MemoryBound: 0
; FloatMode: 240
; IeeeMode: 1
; LDSByteSize: 0 bytes/workgroup (compile time only)
; SGPRBlocks: 0
; VGPRBlocks: 1
; NumSGPRsForWavesPerEU: 26
; NumVGPRsForWavesPerEU: 20
; NamedBarCnt: 0
; Occupancy: 16
; WaveLimiterHint : 0
; COMPUTE_PGM_RSRC2:SCRATCH_EN: 0
; COMPUTE_PGM_RSRC2:USER_SGPR: 2
; COMPUTE_PGM_RSRC2:TRAP_HANDLER: 0
; COMPUTE_PGM_RSRC2:TGID_X_EN: 1
; COMPUTE_PGM_RSRC2:TGID_Y_EN: 1
; COMPUTE_PGM_RSRC2:TGID_Z_EN: 1
; COMPUTE_PGM_RSRC2:TIDIG_COMP_CNT: 0
	.section	.text._ZN9rocsolver6v33100L9get_arrayI19rocblas_complex_numIfEiEEvPPT_S5_lT0_,"axG",@progbits,_ZN9rocsolver6v33100L9get_arrayI19rocblas_complex_numIfEiEEvPPT_S5_lT0_,comdat
	.globl	_ZN9rocsolver6v33100L9get_arrayI19rocblas_complex_numIfEiEEvPPT_S5_lT0_ ; -- Begin function _ZN9rocsolver6v33100L9get_arrayI19rocblas_complex_numIfEiEEvPPT_S5_lT0_
	.p2align	8
	.type	_ZN9rocsolver6v33100L9get_arrayI19rocblas_complex_numIfEiEEvPPT_S5_lT0_,@function
_ZN9rocsolver6v33100L9get_arrayI19rocblas_complex_numIfEiEEvPPT_S5_lT0_: ; @_ZN9rocsolver6v33100L9get_arrayI19rocblas_complex_numIfEiEEvPPT_S5_lT0_
; %bb.0:
	s_clause 0x1
	s_load_b32 s2, s[0:1], 0x2c
	s_load_b32 s3, s[0:1], 0x18
	s_bfe_u32 s4, ttmp6, 0x4000c
	s_and_b32 s5, ttmp6, 15
	s_add_co_i32 s4, s4, 1
	s_getreg_b32 s6, hwreg(HW_REG_IB_STS2, 6, 4)
	s_mul_i32 s4, ttmp9, s4
	s_delay_alu instid0(SALU_CYCLE_1) | instskip(SKIP_4) | instid1(SALU_CYCLE_1)
	s_add_co_i32 s5, s5, s4
	s_wait_kmcnt 0x0
	s_and_b32 s2, s2, 0xffff
	s_cmp_eq_u32 s6, 0
	s_cselect_b32 s4, ttmp9, s5
	v_mad_u32 v0, s4, s2, v0
	s_mov_b32 s2, exec_lo
	s_delay_alu instid0(VALU_DEP_1)
	v_cmpx_gt_i32_e64 s3, v0
	s_cbranch_execz .LBB52_2
; %bb.1:
	s_load_b64 s[2:3], s[0:1], 0x10
	v_ashrrev_i32_e32 v1, 31, v0
	s_wait_kmcnt 0x0
	s_delay_alu instid0(VALU_DEP_1) | instskip(SKIP_2) | instid1(VALU_DEP_1)
	v_mul_u64_e32 v[2:3], s[2:3], v[0:1]
	s_load_b128 s[0:3], s[0:1], 0x0
	s_wait_kmcnt 0x0
	v_lshl_add_u64 v[2:3], v[2:3], 3, s[2:3]
	global_store_b64 v0, v[2:3], s[0:1] scale_offset
.LBB52_2:
	s_endpgm
	.section	.rodata,"a",@progbits
	.p2align	6, 0x0
	.amdhsa_kernel _ZN9rocsolver6v33100L9get_arrayI19rocblas_complex_numIfEiEEvPPT_S5_lT0_
		.amdhsa_group_segment_fixed_size 0
		.amdhsa_private_segment_fixed_size 0
		.amdhsa_kernarg_size 288
		.amdhsa_user_sgpr_count 2
		.amdhsa_user_sgpr_dispatch_ptr 0
		.amdhsa_user_sgpr_queue_ptr 0
		.amdhsa_user_sgpr_kernarg_segment_ptr 1
		.amdhsa_user_sgpr_dispatch_id 0
		.amdhsa_user_sgpr_kernarg_preload_length 0
		.amdhsa_user_sgpr_kernarg_preload_offset 0
		.amdhsa_user_sgpr_private_segment_size 0
		.amdhsa_wavefront_size32 1
		.amdhsa_uses_dynamic_stack 0
		.amdhsa_enable_private_segment 0
		.amdhsa_system_sgpr_workgroup_id_x 1
		.amdhsa_system_sgpr_workgroup_id_y 0
		.amdhsa_system_sgpr_workgroup_id_z 0
		.amdhsa_system_sgpr_workgroup_info 0
		.amdhsa_system_vgpr_workitem_id 0
		.amdhsa_next_free_vgpr 4
		.amdhsa_next_free_sgpr 7
		.amdhsa_named_barrier_count 0
		.amdhsa_reserve_vcc 0
		.amdhsa_float_round_mode_32 0
		.amdhsa_float_round_mode_16_64 0
		.amdhsa_float_denorm_mode_32 3
		.amdhsa_float_denorm_mode_16_64 3
		.amdhsa_fp16_overflow 0
		.amdhsa_memory_ordered 1
		.amdhsa_forward_progress 1
		.amdhsa_inst_pref_size 2
		.amdhsa_round_robin_scheduling 0
		.amdhsa_exception_fp_ieee_invalid_op 0
		.amdhsa_exception_fp_denorm_src 0
		.amdhsa_exception_fp_ieee_div_zero 0
		.amdhsa_exception_fp_ieee_overflow 0
		.amdhsa_exception_fp_ieee_underflow 0
		.amdhsa_exception_fp_ieee_inexact 0
		.amdhsa_exception_int_div_zero 0
	.end_amdhsa_kernel
	.section	.text._ZN9rocsolver6v33100L9get_arrayI19rocblas_complex_numIfEiEEvPPT_S5_lT0_,"axG",@progbits,_ZN9rocsolver6v33100L9get_arrayI19rocblas_complex_numIfEiEEvPPT_S5_lT0_,comdat
.Lfunc_end52:
	.size	_ZN9rocsolver6v33100L9get_arrayI19rocblas_complex_numIfEiEEvPPT_S5_lT0_, .Lfunc_end52-_ZN9rocsolver6v33100L9get_arrayI19rocblas_complex_numIfEiEEvPPT_S5_lT0_
                                        ; -- End function
	.set _ZN9rocsolver6v33100L9get_arrayI19rocblas_complex_numIfEiEEvPPT_S5_lT0_.num_vgpr, 4
	.set _ZN9rocsolver6v33100L9get_arrayI19rocblas_complex_numIfEiEEvPPT_S5_lT0_.num_agpr, 0
	.set _ZN9rocsolver6v33100L9get_arrayI19rocblas_complex_numIfEiEEvPPT_S5_lT0_.numbered_sgpr, 7
	.set _ZN9rocsolver6v33100L9get_arrayI19rocblas_complex_numIfEiEEvPPT_S5_lT0_.num_named_barrier, 0
	.set _ZN9rocsolver6v33100L9get_arrayI19rocblas_complex_numIfEiEEvPPT_S5_lT0_.private_seg_size, 0
	.set _ZN9rocsolver6v33100L9get_arrayI19rocblas_complex_numIfEiEEvPPT_S5_lT0_.uses_vcc, 0
	.set _ZN9rocsolver6v33100L9get_arrayI19rocblas_complex_numIfEiEEvPPT_S5_lT0_.uses_flat_scratch, 0
	.set _ZN9rocsolver6v33100L9get_arrayI19rocblas_complex_numIfEiEEvPPT_S5_lT0_.has_dyn_sized_stack, 0
	.set _ZN9rocsolver6v33100L9get_arrayI19rocblas_complex_numIfEiEEvPPT_S5_lT0_.has_recursion, 0
	.set _ZN9rocsolver6v33100L9get_arrayI19rocblas_complex_numIfEiEEvPPT_S5_lT0_.has_indirect_call, 0
	.section	.AMDGPU.csdata,"",@progbits
; Kernel info:
; codeLenInByte = 160
; TotalNumSgprs: 7
; NumVgprs: 4
; ScratchSize: 0
; MemoryBound: 0
; FloatMode: 240
; IeeeMode: 1
; LDSByteSize: 0 bytes/workgroup (compile time only)
; SGPRBlocks: 0
; VGPRBlocks: 0
; NumSGPRsForWavesPerEU: 7
; NumVGPRsForWavesPerEU: 4
; NamedBarCnt: 0
; Occupancy: 16
; WaveLimiterHint : 0
; COMPUTE_PGM_RSRC2:SCRATCH_EN: 0
; COMPUTE_PGM_RSRC2:USER_SGPR: 2
; COMPUTE_PGM_RSRC2:TRAP_HANDLER: 0
; COMPUTE_PGM_RSRC2:TGID_X_EN: 1
; COMPUTE_PGM_RSRC2:TGID_Y_EN: 0
; COMPUTE_PGM_RSRC2:TGID_Z_EN: 0
; COMPUTE_PGM_RSRC2:TIDIG_COMP_CNT: 0
	.section	.text._ZN9rocsolver6v33100L12restore_diagI19rocblas_complex_numIfEifPKPS3_EEvPT1_llT2_lT0_lSA_,"axG",@progbits,_ZN9rocsolver6v33100L12restore_diagI19rocblas_complex_numIfEifPKPS3_EEvPT1_llT2_lT0_lSA_,comdat
	.globl	_ZN9rocsolver6v33100L12restore_diagI19rocblas_complex_numIfEifPKPS3_EEvPT1_llT2_lT0_lSA_ ; -- Begin function _ZN9rocsolver6v33100L12restore_diagI19rocblas_complex_numIfEifPKPS3_EEvPT1_llT2_lT0_lSA_
	.p2align	8
	.type	_ZN9rocsolver6v33100L12restore_diagI19rocblas_complex_numIfEifPKPS3_EEvPT1_llT2_lT0_lSA_,@function
_ZN9rocsolver6v33100L12restore_diagI19rocblas_complex_numIfEifPKPS3_EEvPT1_llT2_lT0_lSA_: ; @_ZN9rocsolver6v33100L12restore_diagI19rocblas_complex_numIfEifPKPS3_EEvPT1_llT2_lT0_lSA_
; %bb.0:
	s_clause 0x1
	s_load_u16 s3, s[0:1], 0x4e
	s_load_b32 s4, s[0:1], 0x38
	s_bfe_u32 s2, ttmp6, 0x40010
	s_bfe_u32 s5, ttmp6, 0x40004
	s_add_co_i32 s2, s2, 1
	v_bfe_u32 v0, v0, 10, 10
	s_mul_i32 s2, ttmp7, s2
	s_delay_alu instid0(SALU_CYCLE_1) | instskip(SKIP_1) | instid1(SALU_CYCLE_1)
	s_add_co_i32 s5, s5, s2
	s_getreg_b32 s2, hwreg(HW_REG_IB_STS2, 6, 4)
	s_cmp_eq_u32 s2, 0
	s_cselect_b32 s5, ttmp7, s5
	s_wait_kmcnt 0x0
	v_mad_u32 v0, s5, s3, v0
	s_mov_b32 s3, exec_lo
	s_delay_alu instid0(VALU_DEP_1)
	v_cmpx_gt_i32_e64 s4, v0
	s_cbranch_execz .LBB53_2
; %bb.1:
	s_load_b256 s[4:11], s[0:1], 0x0
	s_bfe_u32 s3, ttmp6, 0x4000c
	s_and_b32 s12, ttmp6, 15
	s_add_co_i32 s3, s3, 1
	v_mov_b32_e32 v3, 0
	s_mul_i32 s3, ttmp9, s3
	s_delay_alu instid0(SALU_CYCLE_1) | instskip(SKIP_2) | instid1(SALU_CYCLE_1)
	s_add_co_i32 s12, s12, s3
	s_cmp_eq_u32 s2, 0
	s_cselect_b32 s12, ttmp9, s12
	s_ashr_i32 s13, s12, 31
	s_wait_kmcnt 0x0
	s_mul_u64 s[2:3], s[8:9], s[12:13]
	s_delay_alu instid0(SALU_CYCLE_1) | instskip(NEXT) | instid1(SALU_CYCLE_1)
	s_lshl_b64 s[2:3], s[2:3], 2
	s_add_nc_u64 s[2:3], s[4:5], s[2:3]
	s_lshl_b64 s[4:5], s[6:7], 2
	s_delay_alu instid0(SALU_CYCLE_1)
	s_add_nc_u64 s[2:3], s[2:3], s[4:5]
	s_lshl_b64 s[4:5], s[12:13], 3
	global_load_b32 v2, v0, s[2:3] scale_offset
	s_wait_xcnt 0x0
	s_load_b96 s[0:2], s[0:1], 0x20
	s_add_nc_u64 s[4:5], s[10:11], s[4:5]
	s_load_b64 s[4:5], s[4:5], 0x0
	s_wait_kmcnt 0x0
	v_mad_u32 v0, v0, s2, v0
	s_lshl_b64 s[0:1], s[0:1], 3
	s_delay_alu instid0(SALU_CYCLE_1)
	s_add_nc_u64 s[0:1], s[4:5], s[0:1]
	s_wait_loadcnt 0x0
	flat_store_b64 v0, v[2:3], s[0:1] scale_offset
.LBB53_2:
	s_endpgm
	.section	.rodata,"a",@progbits
	.p2align	6, 0x0
	.amdhsa_kernel _ZN9rocsolver6v33100L12restore_diagI19rocblas_complex_numIfEifPKPS3_EEvPT1_llT2_lT0_lSA_
		.amdhsa_group_segment_fixed_size 0
		.amdhsa_private_segment_fixed_size 0
		.amdhsa_kernarg_size 320
		.amdhsa_user_sgpr_count 2
		.amdhsa_user_sgpr_dispatch_ptr 0
		.amdhsa_user_sgpr_queue_ptr 0
		.amdhsa_user_sgpr_kernarg_segment_ptr 1
		.amdhsa_user_sgpr_dispatch_id 0
		.amdhsa_user_sgpr_kernarg_preload_length 0
		.amdhsa_user_sgpr_kernarg_preload_offset 0
		.amdhsa_user_sgpr_private_segment_size 0
		.amdhsa_wavefront_size32 1
		.amdhsa_uses_dynamic_stack 0
		.amdhsa_enable_private_segment 0
		.amdhsa_system_sgpr_workgroup_id_x 1
		.amdhsa_system_sgpr_workgroup_id_y 1
		.amdhsa_system_sgpr_workgroup_id_z 0
		.amdhsa_system_sgpr_workgroup_info 0
		.amdhsa_system_vgpr_workitem_id 1
		.amdhsa_next_free_vgpr 4
		.amdhsa_next_free_sgpr 14
		.amdhsa_named_barrier_count 0
		.amdhsa_reserve_vcc 0
		.amdhsa_float_round_mode_32 0
		.amdhsa_float_round_mode_16_64 0
		.amdhsa_float_denorm_mode_32 3
		.amdhsa_float_denorm_mode_16_64 3
		.amdhsa_fp16_overflow 0
		.amdhsa_memory_ordered 1
		.amdhsa_forward_progress 1
		.amdhsa_inst_pref_size 3
		.amdhsa_round_robin_scheduling 0
		.amdhsa_exception_fp_ieee_invalid_op 0
		.amdhsa_exception_fp_denorm_src 0
		.amdhsa_exception_fp_ieee_div_zero 0
		.amdhsa_exception_fp_ieee_overflow 0
		.amdhsa_exception_fp_ieee_underflow 0
		.amdhsa_exception_fp_ieee_inexact 0
		.amdhsa_exception_int_div_zero 0
	.end_amdhsa_kernel
	.section	.text._ZN9rocsolver6v33100L12restore_diagI19rocblas_complex_numIfEifPKPS3_EEvPT1_llT2_lT0_lSA_,"axG",@progbits,_ZN9rocsolver6v33100L12restore_diagI19rocblas_complex_numIfEifPKPS3_EEvPT1_llT2_lT0_lSA_,comdat
.Lfunc_end53:
	.size	_ZN9rocsolver6v33100L12restore_diagI19rocblas_complex_numIfEifPKPS3_EEvPT1_llT2_lT0_lSA_, .Lfunc_end53-_ZN9rocsolver6v33100L12restore_diagI19rocblas_complex_numIfEifPKPS3_EEvPT1_llT2_lT0_lSA_
                                        ; -- End function
	.set _ZN9rocsolver6v33100L12restore_diagI19rocblas_complex_numIfEifPKPS3_EEvPT1_llT2_lT0_lSA_.num_vgpr, 4
	.set _ZN9rocsolver6v33100L12restore_diagI19rocblas_complex_numIfEifPKPS3_EEvPT1_llT2_lT0_lSA_.num_agpr, 0
	.set _ZN9rocsolver6v33100L12restore_diagI19rocblas_complex_numIfEifPKPS3_EEvPT1_llT2_lT0_lSA_.numbered_sgpr, 14
	.set _ZN9rocsolver6v33100L12restore_diagI19rocblas_complex_numIfEifPKPS3_EEvPT1_llT2_lT0_lSA_.num_named_barrier, 0
	.set _ZN9rocsolver6v33100L12restore_diagI19rocblas_complex_numIfEifPKPS3_EEvPT1_llT2_lT0_lSA_.private_seg_size, 0
	.set _ZN9rocsolver6v33100L12restore_diagI19rocblas_complex_numIfEifPKPS3_EEvPT1_llT2_lT0_lSA_.uses_vcc, 0
	.set _ZN9rocsolver6v33100L12restore_diagI19rocblas_complex_numIfEifPKPS3_EEvPT1_llT2_lT0_lSA_.uses_flat_scratch, 0
	.set _ZN9rocsolver6v33100L12restore_diagI19rocblas_complex_numIfEifPKPS3_EEvPT1_llT2_lT0_lSA_.has_dyn_sized_stack, 0
	.set _ZN9rocsolver6v33100L12restore_diagI19rocblas_complex_numIfEifPKPS3_EEvPT1_llT2_lT0_lSA_.has_recursion, 0
	.set _ZN9rocsolver6v33100L12restore_diagI19rocblas_complex_numIfEifPKPS3_EEvPT1_llT2_lT0_lSA_.has_indirect_call, 0
	.section	.AMDGPU.csdata,"",@progbits
; Kernel info:
; codeLenInByte = 272
; TotalNumSgprs: 14
; NumVgprs: 4
; ScratchSize: 0
; MemoryBound: 0
; FloatMode: 240
; IeeeMode: 1
; LDSByteSize: 0 bytes/workgroup (compile time only)
; SGPRBlocks: 0
; VGPRBlocks: 0
; NumSGPRsForWavesPerEU: 14
; NumVGPRsForWavesPerEU: 4
; NamedBarCnt: 0
; Occupancy: 16
; WaveLimiterHint : 1
; COMPUTE_PGM_RSRC2:SCRATCH_EN: 0
; COMPUTE_PGM_RSRC2:USER_SGPR: 2
; COMPUTE_PGM_RSRC2:TRAP_HANDLER: 0
; COMPUTE_PGM_RSRC2:TGID_X_EN: 1
; COMPUTE_PGM_RSRC2:TGID_Y_EN: 1
; COMPUTE_PGM_RSRC2:TGID_Z_EN: 0
; COMPUTE_PGM_RSRC2:TIDIG_COMP_CNT: 1
	.section	.text._ZN9rocsolver6v33100L14set_triangularI19rocblas_complex_numIfEPKPS3_TnNSt9enable_ifIX18rocblas_is_complexIT_EEiE4typeELi0EEEviiT0_iilPS8_lSC_il15rocblas_direct_15rocblas_storev_b,"axG",@progbits,_ZN9rocsolver6v33100L14set_triangularI19rocblas_complex_numIfEPKPS3_TnNSt9enable_ifIX18rocblas_is_complexIT_EEiE4typeELi0EEEviiT0_iilPS8_lSC_il15rocblas_direct_15rocblas_storev_b,comdat
	.globl	_ZN9rocsolver6v33100L14set_triangularI19rocblas_complex_numIfEPKPS3_TnNSt9enable_ifIX18rocblas_is_complexIT_EEiE4typeELi0EEEviiT0_iilPS8_lSC_il15rocblas_direct_15rocblas_storev_b ; -- Begin function _ZN9rocsolver6v33100L14set_triangularI19rocblas_complex_numIfEPKPS3_TnNSt9enable_ifIX18rocblas_is_complexIT_EEiE4typeELi0EEEviiT0_iilPS8_lSC_il15rocblas_direct_15rocblas_storev_b
	.p2align	8
	.type	_ZN9rocsolver6v33100L14set_triangularI19rocblas_complex_numIfEPKPS3_TnNSt9enable_ifIX18rocblas_is_complexIT_EEiE4typeELi0EEEviiT0_iilPS8_lSC_il15rocblas_direct_15rocblas_storev_b,@function
_ZN9rocsolver6v33100L14set_triangularI19rocblas_complex_numIfEPKPS3_TnNSt9enable_ifIX18rocblas_is_complexIT_EEiE4typeELi0EEEviiT0_iilPS8_lSC_il15rocblas_direct_15rocblas_storev_b: ; @_ZN9rocsolver6v33100L14set_triangularI19rocblas_complex_numIfEPKPS3_TnNSt9enable_ifIX18rocblas_is_complexIT_EEiE4typeELi0EEEviiT0_iilPS8_lSC_il15rocblas_direct_15rocblas_storev_b
; %bb.0:
	s_clause 0x1
	s_load_b32 s3, s[0:1], 0x64
	s_load_b64 s[18:19], s[0:1], 0x0
	s_bfe_u32 s5, ttmp6, 0x40010
	s_bfe_u32 s8, ttmp6, 0x4000c
	s_and_b32 s4, ttmp7, 0xffff
	s_add_co_i32 s5, s5, 1
	s_add_co_i32 s8, s8, 1
	s_bfe_u32 s6, ttmp6, 0x40004
	s_and_b32 s7, ttmp6, 15
	s_mul_i32 s5, s4, s5
	s_mul_i32 s8, ttmp9, s8
	s_getreg_b32 s2, hwreg(HW_REG_IB_STS2, 6, 4)
	v_and_b32_e32 v1, 0x3ff, v0
	v_bfe_u32 v2, v0, 10, 10
	s_add_co_i32 s6, s6, s5
	s_add_co_i32 s7, s7, s8
	s_mov_b32 s21, 0
	s_wait_kmcnt 0x0
	s_lshr_b32 s5, s3, 16
	s_and_b32 s3, s3, 0xffff
	s_cmp_eq_u32 s2, 0
	s_cselect_b32 s7, ttmp9, s7
	s_cselect_b32 s4, s4, s6
	v_mad_u32 v0, s7, s3, v1
	v_mad_u32 v2, s4, s5, v2
	s_mov_b32 s3, exec_lo
	s_delay_alu instid0(VALU_DEP_1) | instskip(NEXT) | instid1(VALU_DEP_1)
	v_max_u32_e32 v1, v0, v2
	v_cmpx_gt_u32_e64 s19, v1
	s_cbranch_execz .LBB54_36
; %bb.1:
	s_clause 0x2
	s_load_b128 s[4:7], s[0:1], 0x20
	s_load_b64 s[12:13], s[0:1], 0x40
	s_load_b96 s[8:10], s[0:1], 0x30
	s_bfe_u32 s3, ttmp6, 0x40014
	s_lshr_b32 s11, ttmp7, 16
	s_add_co_i32 s3, s3, 1
	s_bfe_u32 s14, ttmp6, 0x40008
	s_mul_i32 s3, s11, s3
	s_delay_alu instid0(SALU_CYCLE_1)
	s_add_co_i32 s14, s14, s3
	s_cmp_eq_u32 s2, 0
	s_cselect_b32 s20, s11, s14
	s_wait_kmcnt 0x0
	s_mul_u64 s[2:3], s[6:7], s[20:21]
	s_mul_u64 s[6:7], s[12:13], s[20:21]
	s_lshl_b64 s[2:3], s[2:3], 3
	s_lshl_b64 s[6:7], s[6:7], 3
	s_add_nc_u64 s[16:17], s[4:5], s[2:3]
	s_add_nc_u64 s[2:3], s[8:9], s[6:7]
	s_mov_b32 s4, exec_lo
	v_cmpx_ne_u32_e64 v2, v0
	s_xor_b32 s8, exec_lo, s4
	s_cbranch_execz .LBB54_34
; %bb.2:
	s_clause 0x1
	s_load_b128 s[4:7], s[0:1], 0x8
	s_load_b96 s[12:14], s[0:1], 0x48
	v_mov_b32_e32 v1, 0
	s_wait_kmcnt 0x0
	s_load_b64 s[0:1], s[4:5], s20 offset:0x0 scale_offset
	s_wait_xcnt 0x0
	s_ashr_i32 s5, s6, 31
	s_mov_b32 s4, s6
	s_delay_alu instid0(SALU_CYCLE_1) | instskip(SKIP_3) | instid1(SALU_CYCLE_1)
	s_lshl_b64 s[20:21], s[4:5], 3
	s_bitcmp1_b32 s14, 0
	s_mov_b32 s5, -1
	s_cselect_b32 s4, -1, 0
	s_xor_b32 s4, s4, -1
	s_cmp_lg_u32 s12, 0xab
	s_wait_kmcnt 0x0
	s_add_nc_u64 s[0:1], s[0:1], s[20:21]
	s_cbranch_scc0 .LBB54_18
; %bb.3:
	s_mov_b32 s5, exec_lo
	v_cmpx_le_u32_e64 v2, v0
	s_xor_b32 s5, exec_lo, s5
	s_cbranch_execz .LBB54_5
; %bb.4:
	s_ashr_i32 s15, s10, 31
	s_mov_b32 s14, s10
	v_mov_b32_e32 v3, 0
	v_mul_u64_e32 v[4:5], s[14:15], v[0:1]
	v_mov_b64_e32 v[6:7], 0
	s_delay_alu instid0(VALU_DEP_2) | instskip(NEXT) | instid1(VALU_DEP_1)
	v_lshl_add_u64 v[4:5], v[4:5], 3, s[2:3]
	v_lshl_add_u64 v[4:5], v[2:3], 3, v[4:5]
	global_store_b64 v[4:5], v[6:7], off
.LBB54_5:
	s_wait_xcnt 0x0
	s_and_not1_saveexec_b32 s5, s5
	s_cbranch_execz .LBB54_17
; %bb.6:
	v_lshl_add_u64 v[4:5], v[0:1], 3, s[16:17]
	s_cmp_lg_u32 s13, 0xb5
	s_mov_b32 s6, -1
	global_load_b64 v[4:5], v[4:5], off
	s_cbranch_scc0 .LBB54_12
; %bb.7:
	v_mov_b32_e32 v3, 0
	s_and_not1_b32 vcc_lo, exec_lo, s4
	s_delay_alu instid0(VALU_DEP_1)
	v_lshlrev_b64_e32 v[6:7], 3, v[2:3]
	s_cbranch_vccnz .LBB54_9
; %bb.8:
	s_sub_co_i32 s6, s18, s19
	s_ashr_i32 s15, s7, 31
	v_dual_mov_b32 v9, v3 :: v_dual_add_nc_u32 v8, s6, v0
	s_mov_b32 s14, s7
	s_wait_loadcnt 0x0
	v_mov_b32_e32 v12, v5
	s_mov_b32 s6, 0
	v_mul_u64_e32 v[8:9], s[14:15], v[8:9]
	s_ashr_i32 s15, s10, 31
	s_mov_b32 s14, s10
	s_delay_alu instid0(SALU_CYCLE_1) | instskip(NEXT) | instid1(VALU_DEP_2)
	v_mul_u64_e32 v[10:11], s[14:15], v[0:1]
	v_lshl_add_u64 v[8:9], v[8:9], 3, s[0:1]
	s_delay_alu instid0(VALU_DEP_2) | instskip(NEXT) | instid1(VALU_DEP_2)
	v_lshl_add_u64 v[10:11], v[10:11], 3, s[2:3]
	v_add_nc_u64_e32 v[8:9], v[8:9], v[6:7]
	s_delay_alu instid0(VALU_DEP_2) | instskip(SKIP_4) | instid1(VALU_DEP_1)
	v_add_nc_u64_e32 v[10:11], v[10:11], v[6:7]
	flat_load_b64 v[8:9], v[8:9]
	s_wait_loadcnt_dscnt 0x0
	v_pk_mul_f32 v[12:13], v[12:13], v[8:9] op_sel_hi:[0,1] neg_lo:[1,0]
	s_wait_xcnt 0x0
	v_pk_fma_f32 v[8:9], v[4:5], v[8:9], v[12:13] op_sel:[0,0,1] op_sel_hi:[0,1,0] neg_lo:[1,0,0] neg_hi:[1,0,0]
	global_store_b64 v[10:11], v[8:9], off
.LBB54_9:
	s_and_not1_b32 vcc_lo, exec_lo, s6
	s_cbranch_vccnz .LBB54_11
; %bb.10:
	s_sub_co_i32 s6, s18, s19
	s_ashr_i32 s15, s10, 31
	s_wait_xcnt 0x0
	v_dual_mov_b32 v9, 0 :: v_dual_add_nc_u32 v8, s6, v0
	s_mov_b32 s14, s10
	s_ashr_i32 s21, s7, 31
	s_mov_b32 s20, s7
	v_mul_u64_e32 v[10:11], s[14:15], v[0:1]
	v_mul_u64_e32 v[8:9], s[20:21], v[8:9]
	s_delay_alu instid0(VALU_DEP_2) | instskip(NEXT) | instid1(VALU_DEP_2)
	v_lshl_add_u64 v[10:11], v[10:11], 3, s[2:3]
	v_lshl_add_u64 v[8:9], v[8:9], 3, s[0:1]
	s_delay_alu instid0(VALU_DEP_2) | instskip(NEXT) | instid1(VALU_DEP_2)
	v_add_nc_u64_e32 v[10:11], v[10:11], v[6:7]
	v_add_nc_u64_e32 v[6:7], v[8:9], v[6:7]
	global_load_b64 v[8:9], v[10:11], off
	flat_load_b64 v[12:13], v[6:7]
	s_wait_loadcnt_dscnt 0x0
	v_pk_add_f32 v[6:7], v[12:13], v[8:9]
	v_mov_b32_e32 v8, v5
	s_delay_alu instid0(VALU_DEP_2) | instskip(NEXT) | instid1(VALU_DEP_1)
	v_pk_mul_f32 v[12:13], v[4:5], v[6:7] op_sel:[0,1] op_sel_hi:[0,0]
	v_pk_fma_f32 v[6:7], v[8:9], v[6:7], v[12:13] op_sel_hi:[0,1,1] neg_lo:[1,0,1] neg_hi:[0,0,1]
	s_delay_alu instid0(VALU_DEP_1)
	v_dual_mov_b32 v8, v7 :: v_dual_mov_b32 v9, v6
	global_store_b64 v[10:11], v[8:9], off
.LBB54_11:
	s_mov_b32 s6, 0
.LBB54_12:
	s_delay_alu instid0(SALU_CYCLE_1)
	s_and_not1_b32 vcc_lo, exec_lo, s6
	s_cbranch_vccnz .LBB54_17
; %bb.13:
	s_and_not1_b32 vcc_lo, exec_lo, s4
	s_mov_b32 s6, -1
	s_cbranch_vccnz .LBB54_15
; %bb.14:
	s_sub_co_i32 s6, s18, s19
	s_delay_alu instid0(SALU_CYCLE_1) | instskip(SKIP_3) | instid1(VALU_DEP_1)
	v_dual_mov_b32 v7, 0 :: v_dual_add_nc_u32 v6, s6, v0
	s_ashr_i32 s15, s7, 31
	s_mov_b32 s14, s7
	s_wait_loadcnt 0x0
	v_dual_mov_b32 v10, v5 :: v_dual_mov_b32 v3, v7
	s_mov_b32 s6, 0
	s_delay_alu instid0(VALU_DEP_1) | instskip(SKIP_2) | instid1(VALU_DEP_1)
	v_mul_u64_e32 v[8:9], s[14:15], v[2:3]
	s_ashr_i32 s15, s10, 31
	s_mov_b32 s14, s10
	v_lshl_add_u64 v[8:9], v[8:9], 3, s[0:1]
	s_delay_alu instid0(VALU_DEP_1) | instskip(SKIP_3) | instid1(VALU_DEP_1)
	v_lshl_add_u64 v[6:7], v[6:7], 3, v[8:9]
	v_mul_u64_e32 v[8:9], s[14:15], v[0:1]
	flat_load_b64 v[6:7], v[6:7]
	v_lshl_add_u64 v[8:9], v[8:9], 3, s[2:3]
	v_lshl_add_u64 v[8:9], v[2:3], 3, v[8:9]
	s_wait_loadcnt_dscnt 0x0
	v_pk_mul_f32 v[10:11], v[10:11], v[6:7] op_sel:[0,1] op_sel_hi:[0,0]
	s_wait_xcnt 0x0
	s_delay_alu instid0(VALU_DEP_1)
	v_pk_fma_f32 v[6:7], v[6:7], v[4:5], v[10:11] op_sel_hi:[1,0,1] neg_lo:[0,1,1] neg_hi:[0,0,1]
	global_store_b64 v[8:9], v[6:7], off
.LBB54_15:
	s_and_not1_b32 vcc_lo, exec_lo, s6
	s_cbranch_vccnz .LBB54_17
; %bb.16:
	s_sub_co_i32 s6, s18, s19
	s_wait_xcnt 0x0
	v_dual_mov_b32 v3, 0 :: v_dual_add_nc_u32 v10, s6, v0
	s_ashr_i32 s15, s10, 31
	s_mov_b32 s14, s10
	s_ashr_i32 s21, s7, 31
	s_mov_b32 s20, s7
	v_mul_u64_e32 v[6:7], s[14:15], v[0:1]
	v_mul_u64_e32 v[8:9], s[20:21], v[2:3]
	v_mov_b32_e32 v11, v3
	s_delay_alu instid0(VALU_DEP_3) | instskip(NEXT) | instid1(VALU_DEP_3)
	v_lshl_add_u64 v[6:7], v[6:7], 3, s[2:3]
	v_lshl_add_u64 v[8:9], v[8:9], 3, s[0:1]
	s_delay_alu instid0(VALU_DEP_2) | instskip(NEXT) | instid1(VALU_DEP_2)
	v_lshl_add_u64 v[6:7], v[2:3], 3, v[6:7]
	v_lshl_add_u64 v[8:9], v[10:11], 3, v[8:9]
	global_load_b64 v[10:11], v[6:7], off
	flat_load_b64 v[12:13], v[8:9]
	s_wait_loadcnt_dscnt 0x0
	v_pk_add_f32 v[8:9], v[12:13], v[10:11] op_sel:[1,1] op_sel_hi:[0,0]
	v_pk_add_f32 v[10:11], v[10:11], v[12:13] op_sel:[1,1] op_sel_hi:[0,0] neg_lo:[0,1] neg_hi:[0,1]
	s_delay_alu instid0(VALU_DEP_2) | instskip(NEXT) | instid1(VALU_DEP_2)
	v_dual_mov_b32 v8, v5 :: v_dual_mov_b32 v12, v9
	v_dual_mov_b32 v13, v10 :: v_dual_mov_b32 v11, v9
	s_delay_alu instid0(VALU_DEP_1) | instskip(NEXT) | instid1(VALU_DEP_1)
	v_pk_mul_f32 v[4:5], v[4:5], v[12:13] op_sel_hi:[0,1]
	v_pk_fma_f32 v[4:5], v[8:9], v[10:11], v[4:5] op_sel_hi:[0,1,1] neg_lo:[0,0,1] neg_hi:[1,0,1]
	global_store_b64 v[6:7], v[4:5], off
.LBB54_17:
	s_wait_xcnt 0x0
	s_or_b32 exec_lo, exec_lo, s5
	s_mov_b32 s5, 0
.LBB54_18:
	s_delay_alu instid0(SALU_CYCLE_1)
	s_and_not1_b32 vcc_lo, exec_lo, s5
	s_cbranch_vccnz .LBB54_34
; %bb.19:
	s_mov_b32 s5, exec_lo
	v_cmpx_ge_u32_e64 v2, v0
	s_xor_b32 s5, exec_lo, s5
	s_cbranch_execz .LBB54_21
; %bb.20:
	s_ashr_i32 s15, s10, 31
	s_mov_b32 s14, s10
	v_mov_b32_e32 v3, 0
	v_mul_u64_e32 v[0:1], s[14:15], v[0:1]
	s_wait_loadcnt 0x0
	v_mov_b64_e32 v[4:5], 0
	s_delay_alu instid0(VALU_DEP_2) | instskip(NEXT) | instid1(VALU_DEP_1)
	v_lshl_add_u64 v[0:1], v[0:1], 3, s[2:3]
	v_lshl_add_u64 v[0:1], v[2:3], 3, v[0:1]
                                        ; implicit-def: $vgpr2
	global_store_b64 v[0:1], v[4:5], off
                                        ; implicit-def: $vgpr0_vgpr1
.LBB54_21:
	s_wait_xcnt 0x0
	s_and_not1_saveexec_b32 s5, s5
	s_cbranch_execz .LBB54_33
; %bb.22:
	s_wait_loadcnt 0x0
	v_lshl_add_u64 v[4:5], v[0:1], 3, s[16:17]
	v_cndmask_b32_e64 v3, 0, 1, s4
	s_cmp_lg_u32 s13, 0xb5
	s_mov_b32 s6, -1
	global_load_b64 v[4:5], v[4:5], off
	v_cmp_ne_u32_e32 vcc_lo, 1, v3
	s_cbranch_scc0 .LBB54_28
; %bb.23:
	v_mov_b32_e32 v3, 0
	s_and_b32 vcc_lo, exec_lo, vcc_lo
	s_delay_alu instid0(VALU_DEP_1)
	v_lshlrev_b64_e32 v[6:7], 3, v[2:3]
	s_cbranch_vccnz .LBB54_25
; %bb.24:
	s_ashr_i32 s13, s7, 31
	s_mov_b32 s12, s7
	s_wait_loadcnt 0x0
	v_mov_b32_e32 v12, v5
	v_mul_u64_e32 v[8:9], s[12:13], v[0:1]
	s_ashr_i32 s13, s10, 31
	s_mov_b32 s12, s10
	s_mov_b32 s6, 0
	v_mul_u64_e32 v[10:11], s[12:13], v[0:1]
	s_delay_alu instid0(VALU_DEP_2) | instskip(NEXT) | instid1(VALU_DEP_2)
	v_lshl_add_u64 v[8:9], v[8:9], 3, s[0:1]
	v_lshl_add_u64 v[10:11], v[10:11], 3, s[2:3]
	s_delay_alu instid0(VALU_DEP_2) | instskip(NEXT) | instid1(VALU_DEP_2)
	v_add_nc_u64_e32 v[8:9], v[8:9], v[6:7]
	v_add_nc_u64_e32 v[10:11], v[10:11], v[6:7]
	flat_load_b64 v[8:9], v[8:9]
	s_wait_loadcnt_dscnt 0x0
	v_pk_mul_f32 v[12:13], v[12:13], v[8:9] op_sel_hi:[0,1] neg_lo:[1,0]
	s_wait_xcnt 0x0
	s_delay_alu instid0(VALU_DEP_1)
	v_pk_fma_f32 v[8:9], v[4:5], v[8:9], v[12:13] op_sel:[0,0,1] op_sel_hi:[0,1,0] neg_lo:[1,0,0] neg_hi:[1,0,0]
	global_store_b64 v[10:11], v[8:9], off
.LBB54_25:
	s_and_not1_b32 vcc_lo, exec_lo, s6
	s_cbranch_vccnz .LBB54_27
; %bb.26:
	s_ashr_i32 s13, s10, 31
	s_mov_b32 s12, s10
	s_ashr_i32 s15, s7, 31
	s_mov_b32 s14, s7
	s_wait_xcnt 0x0
	v_mul_u64_e32 v[8:9], s[12:13], v[0:1]
	v_mul_u64_e32 v[10:11], s[14:15], v[0:1]
	s_delay_alu instid0(VALU_DEP_2) | instskip(NEXT) | instid1(VALU_DEP_2)
	v_lshl_add_u64 v[8:9], v[8:9], 3, s[2:3]
	v_lshl_add_u64 v[10:11], v[10:11], 3, s[0:1]
	s_delay_alu instid0(VALU_DEP_2) | instskip(NEXT) | instid1(VALU_DEP_2)
	v_add_nc_u64_e32 v[8:9], v[8:9], v[6:7]
	v_add_nc_u64_e32 v[6:7], v[10:11], v[6:7]
	global_load_b64 v[10:11], v[8:9], off
	flat_load_b64 v[12:13], v[6:7]
	s_wait_loadcnt_dscnt 0x0
	v_pk_add_f32 v[6:7], v[12:13], v[10:11]
	v_mov_b32_e32 v10, v5
	s_delay_alu instid0(VALU_DEP_2) | instskip(NEXT) | instid1(VALU_DEP_1)
	v_pk_mul_f32 v[12:13], v[4:5], v[6:7] op_sel:[0,1] op_sel_hi:[0,0]
	v_pk_fma_f32 v[6:7], v[10:11], v[6:7], v[12:13] op_sel_hi:[0,1,1] neg_lo:[1,0,1] neg_hi:[0,0,1]
	s_delay_alu instid0(VALU_DEP_1)
	v_dual_mov_b32 v10, v7 :: v_dual_mov_b32 v11, v6
	global_store_b64 v[8:9], v[10:11], off
.LBB54_27:
	s_mov_b32 s6, 0
.LBB54_28:
	s_delay_alu instid0(SALU_CYCLE_1)
	s_and_not1_b32 vcc_lo, exec_lo, s6
	s_cbranch_vccnz .LBB54_33
; %bb.29:
	v_mov_b32_e32 v3, 0
	s_and_not1_b32 vcc_lo, exec_lo, s4
	s_mov_b32 s4, -1
	s_cbranch_vccnz .LBB54_31
; %bb.30:
	s_ashr_i32 s13, s7, 31
	s_mov_b32 s12, s7
	s_wait_loadcnt 0x0
	v_mov_b32_e32 v10, v5
	v_mul_u64_e32 v[6:7], s[12:13], v[2:3]
	s_ashr_i32 s13, s10, 31
	s_mov_b32 s12, s10
	s_mov_b32 s4, 0
	v_mul_u64_e32 v[8:9], s[12:13], v[0:1]
	s_delay_alu instid0(VALU_DEP_2) | instskip(NEXT) | instid1(VALU_DEP_2)
	v_lshl_add_u64 v[6:7], v[6:7], 3, s[0:1]
	v_lshl_add_u64 v[8:9], v[8:9], 3, s[2:3]
	s_delay_alu instid0(VALU_DEP_2) | instskip(NEXT) | instid1(VALU_DEP_2)
	v_lshl_add_u64 v[6:7], v[0:1], 3, v[6:7]
	v_lshl_add_u64 v[8:9], v[2:3], 3, v[8:9]
	flat_load_b64 v[6:7], v[6:7]
	s_wait_loadcnt_dscnt 0x0
	v_pk_mul_f32 v[10:11], v[10:11], v[6:7] op_sel:[0,1] op_sel_hi:[0,0]
	s_wait_xcnt 0x0
	s_delay_alu instid0(VALU_DEP_1)
	v_pk_fma_f32 v[6:7], v[6:7], v[4:5], v[10:11] op_sel_hi:[1,0,1] neg_lo:[0,1,1] neg_hi:[0,0,1]
	global_store_b64 v[8:9], v[6:7], off
.LBB54_31:
	s_and_not1_b32 vcc_lo, exec_lo, s4
	s_cbranch_vccnz .LBB54_33
; %bb.32:
	s_ashr_i32 s13, s10, 31
	s_mov_b32 s12, s10
	s_ashr_i32 s15, s7, 31
	s_mov_b32 s14, s7
	s_wait_xcnt 0x0
	v_mul_u64_e32 v[6:7], s[12:13], v[0:1]
	v_mul_u64_e32 v[8:9], s[14:15], v[2:3]
	s_delay_alu instid0(VALU_DEP_2) | instskip(NEXT) | instid1(VALU_DEP_2)
	v_lshl_add_u64 v[6:7], v[6:7], 3, s[2:3]
	v_lshl_add_u64 v[8:9], v[8:9], 3, s[0:1]
	s_delay_alu instid0(VALU_DEP_2) | instskip(NEXT) | instid1(VALU_DEP_2)
	v_lshl_add_u64 v[2:3], v[2:3], 3, v[6:7]
	v_lshl_add_u64 v[0:1], v[0:1], 3, v[8:9]
	global_load_b64 v[6:7], v[2:3], off
	flat_load_b64 v[8:9], v[0:1]
	s_wait_loadcnt_dscnt 0x0
	v_pk_add_f32 v[0:1], v[8:9], v[6:7] op_sel:[1,1] op_sel_hi:[0,0]
	v_pk_add_f32 v[6:7], v[6:7], v[8:9] op_sel:[1,1] op_sel_hi:[0,0] neg_lo:[0,1] neg_hi:[0,1]
	s_delay_alu instid0(VALU_DEP_2) | instskip(NEXT) | instid1(VALU_DEP_2)
	v_dual_mov_b32 v0, v5 :: v_dual_mov_b32 v7, v1
	v_dual_mov_b32 v8, v1 :: v_dual_mov_b32 v9, v6
	s_delay_alu instid0(VALU_DEP_1) | instskip(NEXT) | instid1(VALU_DEP_1)
	v_pk_mul_f32 v[4:5], v[4:5], v[8:9] op_sel_hi:[0,1]
	v_pk_fma_f32 v[0:1], v[0:1], v[6:7], v[4:5] op_sel_hi:[0,1,1] neg_lo:[0,0,1] neg_hi:[1,0,1]
	global_store_b64 v[2:3], v[0:1], off
.LBB54_33:
	s_wait_xcnt 0x0
	s_or_b32 exec_lo, exec_lo, s5
                                        ; implicit-def: $vgpr0
.LBB54_34:
	s_and_not1_saveexec_b32 s0, s8
	s_cbranch_execz .LBB54_36
; %bb.35:
	global_load_b64 v[2:3], v0, s[16:17] scale_offset
	v_mov_b32_e32 v1, 0
	s_ashr_i32 s1, s10, 31
	s_mov_b32 s0, s10
	s_wait_loadcnt 0x1
	s_delay_alu instid0(VALU_DEP_1) | instskip(SKIP_2) | instid1(VALU_DEP_2)
	v_mul_u64_e32 v[4:5], s[0:1], v[0:1]
	s_wait_xcnt 0x0
	v_lshlrev_b64_e32 v[0:1], 3, v[0:1]
	v_lshl_add_u64 v[4:5], v[4:5], 3, s[2:3]
	s_delay_alu instid0(VALU_DEP_1)
	v_add_nc_u64_e32 v[0:1], v[4:5], v[0:1]
	s_wait_loadcnt 0x0
	global_store_b64 v[0:1], v[2:3], off
.LBB54_36:
	s_endpgm
	.section	.rodata,"a",@progbits
	.p2align	6, 0x0
	.amdhsa_kernel _ZN9rocsolver6v33100L14set_triangularI19rocblas_complex_numIfEPKPS3_TnNSt9enable_ifIX18rocblas_is_complexIT_EEiE4typeELi0EEEviiT0_iilPS8_lSC_il15rocblas_direct_15rocblas_storev_b
		.amdhsa_group_segment_fixed_size 0
		.amdhsa_private_segment_fixed_size 0
		.amdhsa_kernarg_size 344
		.amdhsa_user_sgpr_count 2
		.amdhsa_user_sgpr_dispatch_ptr 0
		.amdhsa_user_sgpr_queue_ptr 0
		.amdhsa_user_sgpr_kernarg_segment_ptr 1
		.amdhsa_user_sgpr_dispatch_id 0
		.amdhsa_user_sgpr_kernarg_preload_length 0
		.amdhsa_user_sgpr_kernarg_preload_offset 0
		.amdhsa_user_sgpr_private_segment_size 0
		.amdhsa_wavefront_size32 1
		.amdhsa_uses_dynamic_stack 0
		.amdhsa_enable_private_segment 0
		.amdhsa_system_sgpr_workgroup_id_x 1
		.amdhsa_system_sgpr_workgroup_id_y 1
		.amdhsa_system_sgpr_workgroup_id_z 1
		.amdhsa_system_sgpr_workgroup_info 0
		.amdhsa_system_vgpr_workitem_id 1
		.amdhsa_next_free_vgpr 14
		.amdhsa_next_free_sgpr 22
		.amdhsa_named_barrier_count 0
		.amdhsa_reserve_vcc 1
		.amdhsa_float_round_mode_32 0
		.amdhsa_float_round_mode_16_64 0
		.amdhsa_float_denorm_mode_32 3
		.amdhsa_float_denorm_mode_16_64 3
		.amdhsa_fp16_overflow 0
		.amdhsa_memory_ordered 1
		.amdhsa_forward_progress 1
		.amdhsa_inst_pref_size 17
		.amdhsa_round_robin_scheduling 0
		.amdhsa_exception_fp_ieee_invalid_op 0
		.amdhsa_exception_fp_denorm_src 0
		.amdhsa_exception_fp_ieee_div_zero 0
		.amdhsa_exception_fp_ieee_overflow 0
		.amdhsa_exception_fp_ieee_underflow 0
		.amdhsa_exception_fp_ieee_inexact 0
		.amdhsa_exception_int_div_zero 0
	.end_amdhsa_kernel
	.section	.text._ZN9rocsolver6v33100L14set_triangularI19rocblas_complex_numIfEPKPS3_TnNSt9enable_ifIX18rocblas_is_complexIT_EEiE4typeELi0EEEviiT0_iilPS8_lSC_il15rocblas_direct_15rocblas_storev_b,"axG",@progbits,_ZN9rocsolver6v33100L14set_triangularI19rocblas_complex_numIfEPKPS3_TnNSt9enable_ifIX18rocblas_is_complexIT_EEiE4typeELi0EEEviiT0_iilPS8_lSC_il15rocblas_direct_15rocblas_storev_b,comdat
.Lfunc_end54:
	.size	_ZN9rocsolver6v33100L14set_triangularI19rocblas_complex_numIfEPKPS3_TnNSt9enable_ifIX18rocblas_is_complexIT_EEiE4typeELi0EEEviiT0_iilPS8_lSC_il15rocblas_direct_15rocblas_storev_b, .Lfunc_end54-_ZN9rocsolver6v33100L14set_triangularI19rocblas_complex_numIfEPKPS3_TnNSt9enable_ifIX18rocblas_is_complexIT_EEiE4typeELi0EEEviiT0_iilPS8_lSC_il15rocblas_direct_15rocblas_storev_b
                                        ; -- End function
	.set _ZN9rocsolver6v33100L14set_triangularI19rocblas_complex_numIfEPKPS3_TnNSt9enable_ifIX18rocblas_is_complexIT_EEiE4typeELi0EEEviiT0_iilPS8_lSC_il15rocblas_direct_15rocblas_storev_b.num_vgpr, 14
	.set _ZN9rocsolver6v33100L14set_triangularI19rocblas_complex_numIfEPKPS3_TnNSt9enable_ifIX18rocblas_is_complexIT_EEiE4typeELi0EEEviiT0_iilPS8_lSC_il15rocblas_direct_15rocblas_storev_b.num_agpr, 0
	.set _ZN9rocsolver6v33100L14set_triangularI19rocblas_complex_numIfEPKPS3_TnNSt9enable_ifIX18rocblas_is_complexIT_EEiE4typeELi0EEEviiT0_iilPS8_lSC_il15rocblas_direct_15rocblas_storev_b.numbered_sgpr, 22
	.set _ZN9rocsolver6v33100L14set_triangularI19rocblas_complex_numIfEPKPS3_TnNSt9enable_ifIX18rocblas_is_complexIT_EEiE4typeELi0EEEviiT0_iilPS8_lSC_il15rocblas_direct_15rocblas_storev_b.num_named_barrier, 0
	.set _ZN9rocsolver6v33100L14set_triangularI19rocblas_complex_numIfEPKPS3_TnNSt9enable_ifIX18rocblas_is_complexIT_EEiE4typeELi0EEEviiT0_iilPS8_lSC_il15rocblas_direct_15rocblas_storev_b.private_seg_size, 0
	.set _ZN9rocsolver6v33100L14set_triangularI19rocblas_complex_numIfEPKPS3_TnNSt9enable_ifIX18rocblas_is_complexIT_EEiE4typeELi0EEEviiT0_iilPS8_lSC_il15rocblas_direct_15rocblas_storev_b.uses_vcc, 1
	.set _ZN9rocsolver6v33100L14set_triangularI19rocblas_complex_numIfEPKPS3_TnNSt9enable_ifIX18rocblas_is_complexIT_EEiE4typeELi0EEEviiT0_iilPS8_lSC_il15rocblas_direct_15rocblas_storev_b.uses_flat_scratch, 0
	.set _ZN9rocsolver6v33100L14set_triangularI19rocblas_complex_numIfEPKPS3_TnNSt9enable_ifIX18rocblas_is_complexIT_EEiE4typeELi0EEEviiT0_iilPS8_lSC_il15rocblas_direct_15rocblas_storev_b.has_dyn_sized_stack, 0
	.set _ZN9rocsolver6v33100L14set_triangularI19rocblas_complex_numIfEPKPS3_TnNSt9enable_ifIX18rocblas_is_complexIT_EEiE4typeELi0EEEviiT0_iilPS8_lSC_il15rocblas_direct_15rocblas_storev_b.has_recursion, 0
	.set _ZN9rocsolver6v33100L14set_triangularI19rocblas_complex_numIfEPKPS3_TnNSt9enable_ifIX18rocblas_is_complexIT_EEiE4typeELi0EEEviiT0_iilPS8_lSC_il15rocblas_direct_15rocblas_storev_b.has_indirect_call, 0
	.section	.AMDGPU.csdata,"",@progbits
; Kernel info:
; codeLenInByte = 2076
; TotalNumSgprs: 24
; NumVgprs: 14
; ScratchSize: 0
; MemoryBound: 0
; FloatMode: 240
; IeeeMode: 1
; LDSByteSize: 0 bytes/workgroup (compile time only)
; SGPRBlocks: 0
; VGPRBlocks: 0
; NumSGPRsForWavesPerEU: 24
; NumVGPRsForWavesPerEU: 14
; NamedBarCnt: 0
; Occupancy: 16
; WaveLimiterHint : 1
; COMPUTE_PGM_RSRC2:SCRATCH_EN: 0
; COMPUTE_PGM_RSRC2:USER_SGPR: 2
; COMPUTE_PGM_RSRC2:TRAP_HANDLER: 0
; COMPUTE_PGM_RSRC2:TGID_X_EN: 1
; COMPUTE_PGM_RSRC2:TGID_Y_EN: 1
; COMPUTE_PGM_RSRC2:TGID_Z_EN: 1
; COMPUTE_PGM_RSRC2:TIDIG_COMP_CNT: 1
	.section	.text._ZN9rocsolver6v33100L7set_tauI19rocblas_complex_numIfEEEviPT_l,"axG",@progbits,_ZN9rocsolver6v33100L7set_tauI19rocblas_complex_numIfEEEviPT_l,comdat
	.globl	_ZN9rocsolver6v33100L7set_tauI19rocblas_complex_numIfEEEviPT_l ; -- Begin function _ZN9rocsolver6v33100L7set_tauI19rocblas_complex_numIfEEEviPT_l
	.p2align	8
	.type	_ZN9rocsolver6v33100L7set_tauI19rocblas_complex_numIfEEEviPT_l,@function
_ZN9rocsolver6v33100L7set_tauI19rocblas_complex_numIfEEEviPT_l: ; @_ZN9rocsolver6v33100L7set_tauI19rocblas_complex_numIfEEEviPT_l
; %bb.0:
	s_clause 0x1
	s_load_b32 s3, s[0:1], 0x24
	s_load_b32 s4, s[0:1], 0x0
	s_bfe_u32 s2, ttmp6, 0x4000c
	s_and_b32 s5, ttmp6, 15
	s_add_co_i32 s6, s2, 1
	s_getreg_b32 s2, hwreg(HW_REG_IB_STS2, 6, 4)
	s_mul_i32 s6, ttmp9, s6
	s_delay_alu instid0(SALU_CYCLE_1) | instskip(SKIP_4) | instid1(SALU_CYCLE_1)
	s_add_co_i32 s5, s5, s6
	s_wait_kmcnt 0x0
	s_and_b32 s3, s3, 0xffff
	s_cmp_eq_u32 s2, 0
	s_cselect_b32 s5, ttmp9, s5
	v_mad_u32 v0, s5, s3, v0
	s_mov_b32 s3, 0
	s_delay_alu instid0(VALU_DEP_1)
	v_cmp_gt_u32_e32 vcc_lo, s4, v0
	s_and_saveexec_b32 s4, vcc_lo
	s_cbranch_execz .LBB55_2
; %bb.1:
	s_load_b128 s[4:7], s[0:1], 0x8
	s_wait_xcnt 0x0
	s_bfe_u32 s0, ttmp6, 0x40010
	s_bfe_u32 s1, ttmp6, 0x40004
	s_add_co_i32 s0, s0, 1
	s_delay_alu instid0(SALU_CYCLE_1) | instskip(NEXT) | instid1(SALU_CYCLE_1)
	s_mul_i32 s0, ttmp7, s0
	s_add_co_i32 s1, s1, s0
	s_cmp_eq_u32 s2, 0
	s_cselect_b32 s2, ttmp7, s1
	s_wait_kmcnt 0x0
	s_mul_u64 s[0:1], s[6:7], s[2:3]
	s_delay_alu instid0(SALU_CYCLE_1) | instskip(NEXT) | instid1(SALU_CYCLE_1)
	s_lshl_b64 s[0:1], s[0:1], 3
	s_add_nc_u64 s[0:1], s[4:5], s[0:1]
	global_load_b64 v[2:3], v0, s[0:1] scale_offset
	s_wait_loadcnt 0x0
	v_pk_add_f32 v[2:3], v[2:3], 0 neg_lo:[1,1] neg_hi:[1,1]
	global_store_b64 v0, v[2:3], s[0:1] scale_offset
.LBB55_2:
	s_endpgm
	.section	.rodata,"a",@progbits
	.p2align	6, 0x0
	.amdhsa_kernel _ZN9rocsolver6v33100L7set_tauI19rocblas_complex_numIfEEEviPT_l
		.amdhsa_group_segment_fixed_size 0
		.amdhsa_private_segment_fixed_size 0
		.amdhsa_kernarg_size 280
		.amdhsa_user_sgpr_count 2
		.amdhsa_user_sgpr_dispatch_ptr 0
		.amdhsa_user_sgpr_queue_ptr 0
		.amdhsa_user_sgpr_kernarg_segment_ptr 1
		.amdhsa_user_sgpr_dispatch_id 0
		.amdhsa_user_sgpr_kernarg_preload_length 0
		.amdhsa_user_sgpr_kernarg_preload_offset 0
		.amdhsa_user_sgpr_private_segment_size 0
		.amdhsa_wavefront_size32 1
		.amdhsa_uses_dynamic_stack 0
		.amdhsa_enable_private_segment 0
		.amdhsa_system_sgpr_workgroup_id_x 1
		.amdhsa_system_sgpr_workgroup_id_y 1
		.amdhsa_system_sgpr_workgroup_id_z 0
		.amdhsa_system_sgpr_workgroup_info 0
		.amdhsa_system_vgpr_workitem_id 0
		.amdhsa_next_free_vgpr 4
		.amdhsa_next_free_sgpr 8
		.amdhsa_named_barrier_count 0
		.amdhsa_reserve_vcc 1
		.amdhsa_float_round_mode_32 0
		.amdhsa_float_round_mode_16_64 0
		.amdhsa_float_denorm_mode_32 3
		.amdhsa_float_denorm_mode_16_64 3
		.amdhsa_fp16_overflow 0
		.amdhsa_memory_ordered 1
		.amdhsa_forward_progress 1
		.amdhsa_inst_pref_size 2
		.amdhsa_round_robin_scheduling 0
		.amdhsa_exception_fp_ieee_invalid_op 0
		.amdhsa_exception_fp_denorm_src 0
		.amdhsa_exception_fp_ieee_div_zero 0
		.amdhsa_exception_fp_ieee_overflow 0
		.amdhsa_exception_fp_ieee_underflow 0
		.amdhsa_exception_fp_ieee_inexact 0
		.amdhsa_exception_int_div_zero 0
	.end_amdhsa_kernel
	.section	.text._ZN9rocsolver6v33100L7set_tauI19rocblas_complex_numIfEEEviPT_l,"axG",@progbits,_ZN9rocsolver6v33100L7set_tauI19rocblas_complex_numIfEEEviPT_l,comdat
.Lfunc_end55:
	.size	_ZN9rocsolver6v33100L7set_tauI19rocblas_complex_numIfEEEviPT_l, .Lfunc_end55-_ZN9rocsolver6v33100L7set_tauI19rocblas_complex_numIfEEEviPT_l
                                        ; -- End function
	.set _ZN9rocsolver6v33100L7set_tauI19rocblas_complex_numIfEEEviPT_l.num_vgpr, 4
	.set _ZN9rocsolver6v33100L7set_tauI19rocblas_complex_numIfEEEviPT_l.num_agpr, 0
	.set _ZN9rocsolver6v33100L7set_tauI19rocblas_complex_numIfEEEviPT_l.numbered_sgpr, 8
	.set _ZN9rocsolver6v33100L7set_tauI19rocblas_complex_numIfEEEviPT_l.num_named_barrier, 0
	.set _ZN9rocsolver6v33100L7set_tauI19rocblas_complex_numIfEEEviPT_l.private_seg_size, 0
	.set _ZN9rocsolver6v33100L7set_tauI19rocblas_complex_numIfEEEviPT_l.uses_vcc, 1
	.set _ZN9rocsolver6v33100L7set_tauI19rocblas_complex_numIfEEEviPT_l.uses_flat_scratch, 0
	.set _ZN9rocsolver6v33100L7set_tauI19rocblas_complex_numIfEEEviPT_l.has_dyn_sized_stack, 0
	.set _ZN9rocsolver6v33100L7set_tauI19rocblas_complex_numIfEEEviPT_l.has_recursion, 0
	.set _ZN9rocsolver6v33100L7set_tauI19rocblas_complex_numIfEEEviPT_l.has_indirect_call, 0
	.section	.AMDGPU.csdata,"",@progbits
; Kernel info:
; codeLenInByte = 212
; TotalNumSgprs: 10
; NumVgprs: 4
; ScratchSize: 0
; MemoryBound: 0
; FloatMode: 240
; IeeeMode: 1
; LDSByteSize: 0 bytes/workgroup (compile time only)
; SGPRBlocks: 0
; VGPRBlocks: 0
; NumSGPRsForWavesPerEU: 10
; NumVGPRsForWavesPerEU: 4
; NamedBarCnt: 0
; Occupancy: 16
; WaveLimiterHint : 0
; COMPUTE_PGM_RSRC2:SCRATCH_EN: 0
; COMPUTE_PGM_RSRC2:USER_SGPR: 2
; COMPUTE_PGM_RSRC2:TRAP_HANDLER: 0
; COMPUTE_PGM_RSRC2:TGID_X_EN: 1
; COMPUTE_PGM_RSRC2:TGID_Y_EN: 1
; COMPUTE_PGM_RSRC2:TGID_Z_EN: 0
; COMPUTE_PGM_RSRC2:TIDIG_COMP_CNT: 0
	.section	.text._ZN9rocsolver6v33100L20larft_kernel_forwardI19rocblas_complex_numIfEPKPS3_EEv15rocblas_storev_iiT0_iilPT_lSA_il,"axG",@progbits,_ZN9rocsolver6v33100L20larft_kernel_forwardI19rocblas_complex_numIfEPKPS3_EEv15rocblas_storev_iiT0_iilPT_lSA_il,comdat
	.globl	_ZN9rocsolver6v33100L20larft_kernel_forwardI19rocblas_complex_numIfEPKPS3_EEv15rocblas_storev_iiT0_iilPT_lSA_il ; -- Begin function _ZN9rocsolver6v33100L20larft_kernel_forwardI19rocblas_complex_numIfEPKPS3_EEv15rocblas_storev_iiT0_iilPT_lSA_il
	.p2align	8
	.type	_ZN9rocsolver6v33100L20larft_kernel_forwardI19rocblas_complex_numIfEPKPS3_EEv15rocblas_storev_iiT0_iilPT_lSA_il,@function
_ZN9rocsolver6v33100L20larft_kernel_forwardI19rocblas_complex_numIfEPKPS3_EEv15rocblas_storev_iiT0_iilPT_lSA_il: ; @_ZN9rocsolver6v33100L20larft_kernel_forwardI19rocblas_complex_numIfEPKPS3_EEv15rocblas_storev_iiT0_iilPT_lSA_il
; %bb.0:
	s_clause 0x1
	s_load_b32 s2, s[0:1], 0x5c
	s_load_b64 s[4:5], s[0:1], 0x10
	s_bfe_u32 s3, ttmp6, 0x40010
	s_bfe_u32 s6, ttmp6, 0x40004
	s_add_co_i32 s3, s3, 1
	s_getreg_b32 s7, hwreg(HW_REG_IB_STS2, 6, 4)
	s_mul_i32 s11, ttmp7, s3
	s_clause 0x1
	s_load_b96 s[8:10], s[0:1], 0x38
	s_load_b96 s[12:14], s[0:1], 0x0
	s_add_co_i32 s6, s6, s11
	s_load_b64 s[20:21], s[0:1], 0x48
	v_lshlrev_b32_e32 v2, 3, v0
	s_mov_b32 s11, 0
	s_wait_kmcnt 0x0
	s_and_b32 s3, s2, 0xffff
	s_cmp_eq_u32 s7, 0
	s_cselect_b32 s18, ttmp7, s6
	s_delay_alu instid0(SALU_CYCLE_1)
	s_ashr_i32 s19, s18, 31
	v_mad_u32 v1, v0, s10, v0
	s_lshl_b64 s[6:7], s[18:19], 3
	v_cmp_gt_i32_e64 s2, s14, v0
	s_add_nc_u64 s[22:23], s[4:5], s[6:7]
	s_load_b128 s[4:7], s[0:1], 0x28
	s_load_b64 s[16:17], s[22:23], 0x0
	s_mul_u64 s[20:21], s[20:21], s[18:19]
	s_delay_alu instid0(SALU_CYCLE_1) | instskip(NEXT) | instid1(SALU_CYCLE_1)
	s_lshl_b64 s[20:21], s[20:21], 3
	s_add_nc_u64 s[8:9], s[8:9], s[20:21]
	s_and_saveexec_b32 s15, s2
	s_cbranch_execz .LBB56_5
; %bb.1:
	v_dual_add_nc_u32 v3, 8, v2 :: v_dual_mov_b32 v5, v0
	s_lshl_b32 s20, s14, 3
	s_wait_xcnt 0x0
	s_add_co_i32 s22, s10, 1
	s_add_co_i32 s21, s20, 8
	v_mul_lo_u32 v4, s14, v3
	v_mad_u32 v3, v0, s10, v0
	s_mul_i32 s21, s21, s3
	s_mul_i32 s22, s22, s3
	s_delay_alu instid0(VALU_DEP_2)
	v_add3_u32 v4, v4, v2, 0
.LBB56_2:                               ; =>This Loop Header: Depth=1
                                        ;     Child Loop BB56_3 Depth 2
	s_delay_alu instid0(VALU_DEP_1)
	v_dual_mov_b32 v6, v3 :: v_dual_mov_b32 v7, v4
	v_mov_b32_e32 v8, v5
	s_mov_b32 s23, 0
.LBB56_3:                               ;   Parent Loop BB56_2 Depth=1
                                        ; =>  This Inner Loop Header: Depth=2
	global_load_b64 v[10:11], v6, s[8:9] scale_offset
	s_wait_xcnt 0x0
	v_dual_add_nc_u32 v8, 1, v8 :: v_dual_add_nc_u32 v6, s10, v6
	s_delay_alu instid0(VALU_DEP_1)
	v_cmp_le_i32_e32 vcc_lo, s14, v8
	s_or_b32 s23, vcc_lo, s23
	s_wait_loadcnt 0x0
	ds_store_b64 v7, v[10:11]
	v_add_nc_u32_e32 v7, s20, v7
	s_and_not1_b32 exec_lo, exec_lo, s23
	s_cbranch_execnz .LBB56_3
; %bb.4:                                ;   in Loop: Header=BB56_2 Depth=1
	s_or_b32 exec_lo, exec_lo, s23
	v_dual_add_nc_u32 v5, s3, v5 :: v_dual_add_nc_u32 v4, s21, v4
	v_add_nc_u32_e32 v3, s22, v3
	s_delay_alu instid0(VALU_DEP_2) | instskip(SKIP_1) | instid1(SALU_CYCLE_1)
	v_cmp_le_i32_e32 vcc_lo, s14, v5
	s_or_b32 s11, vcc_lo, s11
	s_and_not1_b32 exec_lo, exec_lo, s11
	s_cbranch_execnz .LBB56_2
.LBB56_5:
	s_or_b32 exec_lo, exec_lo, s15
	s_cmp_lt_i32 s14, 2
	s_wait_dscnt 0x0
	s_barrier_signal -1
	s_barrier_wait -1
	s_cbranch_scc1 .LBB56_31
; %bb.6:
	s_wait_xcnt 0x0
	s_load_b64 s[0:1], s[0:1], 0x18
	v_dual_add_nc_u32 v3, 8, v2 :: v_dual_add_nc_u32 v14, 0, v2
	s_wait_kmcnt 0x0
	s_mul_u64 s[18:19], s[6:7], s[18:19]
	s_lshl_b32 s11, s14, 3
	s_lshl_b64 s[18:19], s[18:19], 3
	v_mul_lo_u32 v4, s14, v3
	v_mov_b32_e32 v3, 0
	s_add_nc_u64 s[4:5], s[4:5], s[18:19]
	s_add_co_i32 s33, s11, 0
	s_mov_b32 s7, 0
	s_mov_b32 s15, 1
	s_delay_alu instid0(VALU_DEP_2)
	v_add3_u32 v12, v4, v2, 0
	s_ashr_i32 s19, s0, 31
	s_mov_b32 s18, s0
	v_mul_lo_u32 v13, v0, s1
	s_lshl_b64 s[22:23], s[18:19], 3
	s_cmp_lg_u32 s12, 0xb5
	v_add_nc_u64_e32 v[4:5], s[22:23], v[2:3]
	s_mov_b32 s24, s1
	s_cselect_b32 s12, -1, 0
	s_ashr_i32 s25, s1, 31
	s_add_co_i32 s40, s11, 8
	s_add_nc_u64 s[18:19], s[16:17], s[22:23]
	s_add_nc_u64 s[20:21], s[22:23], 8
	s_add_co_i32 s38, s13, -2
	s_lshl_b32 s22, s1, 1
	s_lshl_b32 s6, s3, 3
	s_lshl_b64 s[24:25], s[24:25], 3
	s_mul_i32 s39, s1, s3
	s_mul_i32 s40, s40, s3
	s_mov_b32 s26, s1
	s_branch .LBB56_8
.LBB56_7:                               ;   in Loop: Header=BB56_8 Depth=1
	s_or_b32 exec_lo, exec_lo, s0
	s_add_co_i32 s15, s15, 1
	s_add_co_i32 s38, s38, -1
	s_add_co_i32 s22, s22, s1
	s_add_co_i32 s26, s26, s1
	s_add_nc_u64 s[20:21], s[20:21], 8
	s_cmp_eq_u32 s15, s14
	s_add_nc_u64 s[18:19], s[18:19], 8
	s_wait_dscnt 0x0
	s_barrier_signal -1
	s_barrier_wait -1
	s_cbranch_scc1 .LBB56_31
.LBB56_8:                               ; =>This Loop Header: Depth=1
                                        ;     Child Loop BB56_13 Depth 2
                                        ;       Child Loop BB56_15 Depth 3
                                        ;     Child Loop BB56_22 Depth 2
                                        ;       Child Loop BB56_24 Depth 3
	;; [unrolled: 2-line block ×3, first 2 shown]
	s_mul_i32 s0, s15, s14
	s_not_b32 s23, s15
	s_lshl_b32 s0, s0, 3
	s_add_co_i32 s42, s13, s23
	s_add_co_i32 s41, s33, s0
	v_cmp_gt_u32_e64 s0, s15, v0
	s_and_b32 vcc_lo, exec_lo, s12
	s_mov_b32 s23, -1
	s_cbranch_vccz .LBB56_17
; %bb.9:                                ;   in Loop: Header=BB56_8 Depth=1
	s_and_saveexec_b32 s27, s0
	s_cbranch_execz .LBB56_16
; %bb.10:                               ;   in Loop: Header=BB56_8 Depth=1
	s_load_b64 s[28:29], s[4:5], s15 offset:0x0 scale_offset
	s_ashr_i32 s23, s22, 31
	v_mov_b64_e32 v[6:7], v[4:5]
	v_mov_b32_e32 v10, v0
	s_lshl_b64 s[30:31], s[22:23], 3
	s_cmp_gt_i32 s42, 0
	s_mov_b32 s0, 0
	s_add_nc_u64 s[30:31], s[16:17], s[30:31]
	s_cselect_b32 s23, -1, 0
	s_wait_kmcnt 0x0
	s_mov_b32 s34, s28
	s_mov_b32 s35, s28
	;; [unrolled: 1-line block ×3, first 2 shown]
	s_branch .LBB56_13
.LBB56_11:                              ;   in Loop: Header=BB56_13 Depth=2
	v_mov_b32_e32 v9, 0
	s_delay_alu instid0(VALU_DEP_1)
	v_mov_b32_e32 v8, v9
.LBB56_12:                              ;   in Loop: Header=BB56_13 Depth=2
	s_delay_alu instid0(VALU_DEP_1) | instskip(SKIP_2) | instid1(VALU_DEP_3)
	v_dual_mov_b32 v16, v9 :: v_dual_lshlrev_b32 v11, 3, v10
	v_mov_b64_e32 v[18:19], s[28:29]
	v_add_nc_u64_e32 v[6:7], s[6:7], v[6:7]
	v_dual_mov_b32 v17, v8 :: v_dual_add_nc_u32 v15, s41, v11
	v_add_nc_u32_e32 v11, 0, v11
	s_delay_alu instid0(VALU_DEP_2) | instskip(SKIP_2) | instid1(VALU_DEP_1)
	v_pk_mul_f32 v[16:17], v[16:17], v[18:19]
	ds_load_b64 v[20:21], v15
	v_mov_b64_e32 v[18:19], s[34:35]
	v_pk_fma_f32 v[22:23], v[8:9], v[18:19], v[16:17]
	v_add_nc_u32_e32 v10, s3, v10
	v_pk_fma_f32 v[8:9], v[8:9], v[18:19], v[16:17] neg_lo:[0,0,1] neg_hi:[0,0,1]
	s_delay_alu instid0(VALU_DEP_3) | instskip(NEXT) | instid1(VALU_DEP_3)
	v_mov_b32_e32 v9, v23
	v_cmp_le_u32_e32 vcc_lo, s15, v10
	s_or_b32 s0, vcc_lo, s0
	s_wait_dscnt 0x0
	s_delay_alu instid0(VALU_DEP_2)
	v_pk_add_f32 v[8:9], v[20:21], v[8:9]
	ds_store_b64 v11, v[8:9]
	s_wait_xcnt 0x0
	s_and_not1_b32 exec_lo, exec_lo, s0
	s_cbranch_execz .LBB56_16
.LBB56_13:                              ;   Parent Loop BB56_8 Depth=1
                                        ; =>  This Loop Header: Depth=2
                                        ;       Child Loop BB56_15 Depth 3
	s_and_not1_b32 vcc_lo, exec_lo, s23
	s_cbranch_vccnz .LBB56_11
; %bb.14:                               ;   in Loop: Header=BB56_13 Depth=2
	v_mov_b32_e32 v8, 0
	s_mov_b32 s43, 0
	s_mov_b64 s[36:37], s[30:31]
	s_delay_alu instid0(VALU_DEP_1)
	v_mov_b32_e32 v9, v8
.LBB56_15:                              ;   Parent Loop BB56_8 Depth=1
                                        ;     Parent Loop BB56_13 Depth=2
                                        ; =>    This Inner Loop Header: Depth=3
	v_add_nc_u64_e32 v[16:17], s[36:37], v[6:7]
	s_wait_xcnt 0x0
	s_add_nc_u64 s[44:45], s[36:37], s[20:21]
	s_add_co_i32 s43, s43, 1
	s_add_nc_u64 s[36:37], s[36:37], s[24:25]
	s_cmp_eq_u32 s38, s43
	s_clause 0x1
	flat_load_b64 v[18:19], v[16:17]
	flat_load_b64 v[20:21], v3, s[44:45]
	s_wait_loadcnt_dscnt 0x101
	v_mov_b32_e32 v22, v19
	s_wait_loadcnt_dscnt 0x0
	s_wait_xcnt 0x1
	v_pk_mul_f32 v[16:17], v[20:21], v[18:19] op_sel_hi:[1,0]
	s_delay_alu instid0(VALU_DEP_1) | instskip(SKIP_1) | instid1(VALU_DEP_2)
	v_pk_fma_f32 v[18:19], v[20:21], v[18:19], v[16:17] op_sel:[1,1,0] op_sel_hi:[0,1,1] neg_lo:[0,0,1] neg_hi:[0,0,1]
	v_pk_fma_f32 v[16:17], v[20:21], v[22:23], v[16:17] op_sel:[1,0,0] op_sel_hi:[0,1,1]
	v_mov_b32_e32 v17, v19
	s_delay_alu instid0(VALU_DEP_1)
	v_pk_add_f32 v[8:9], v[8:9], v[16:17]
	s_cbranch_scc0 .LBB56_15
	s_branch .LBB56_12
.LBB56_16:                              ;   in Loop: Header=BB56_8 Depth=1
	s_or_b32 exec_lo, exec_lo, s27
	s_mov_b32 s23, 0
.LBB56_17:                              ;   in Loop: Header=BB56_8 Depth=1
	s_delay_alu instid0(SALU_CYCLE_1)
	s_and_not1_b32 vcc_lo, exec_lo, s23
	s_cbranch_vccnz .LBB56_26
; %bb.18:                               ;   in Loop: Header=BB56_8 Depth=1
	s_mov_b32 s0, exec_lo
	v_cmpx_gt_u32_e64 s15, v0
	s_cbranch_execz .LBB56_25
; %bb.19:                               ;   in Loop: Header=BB56_8 Depth=1
	s_load_b64 s[28:29], s[4:5], s15 offset:0x0 scale_offset
	s_ashr_i32 s27, s26, 31
	v_dual_mov_b32 v6, v13 :: v_dual_mov_b32 v15, v0
	s_lshl_b64 s[30:31], s[26:27], 3
	s_cmp_gt_i32 s42, 0
	s_mov_b32 s23, 0
	s_add_nc_u64 s[30:31], s[30:31], 16
	s_cselect_b32 s27, -1, 0
	s_wait_kmcnt 0x0
	s_mov_b32 s34, s28
	s_mov_b32 s35, s28
	;; [unrolled: 1-line block ×3, first 2 shown]
	s_branch .LBB56_22
.LBB56_20:                              ;   in Loop: Header=BB56_22 Depth=2
	v_mov_b32_e32 v9, 0
	s_delay_alu instid0(VALU_DEP_1)
	v_mov_b32_e32 v8, v9
.LBB56_21:                              ;   in Loop: Header=BB56_22 Depth=2
	s_delay_alu instid0(VALU_DEP_1) | instskip(SKIP_1) | instid1(VALU_DEP_3)
	v_dual_mov_b32 v10, v9 :: v_dual_lshlrev_b32 v7, 3, v15
	v_mov_b64_e32 v[16:17], s[28:29]
	v_dual_mov_b32 v11, v8 :: v_dual_add_nc_u32 v6, s39, v6
	s_delay_alu instid0(VALU_DEP_3) | instskip(NEXT) | instid1(VALU_DEP_2)
	v_dual_add_nc_u32 v18, s41, v7 :: v_dual_add_nc_u32 v7, 0, v7
	v_pk_mul_f32 v[10:11], v[10:11], v[16:17]
	ds_load_b64 v[18:19], v18
	v_mov_b64_e32 v[16:17], s[34:35]
	s_delay_alu instid0(VALU_DEP_1) | instskip(SKIP_2) | instid1(VALU_DEP_3)
	v_pk_fma_f32 v[20:21], v[8:9], v[16:17], v[10:11]
	v_add_nc_u32_e32 v15, s3, v15
	v_pk_fma_f32 v[8:9], v[8:9], v[16:17], v[10:11] neg_lo:[0,0,1] neg_hi:[0,0,1]
	v_mov_b32_e32 v9, v21
	s_delay_alu instid0(VALU_DEP_3) | instskip(SKIP_2) | instid1(VALU_DEP_2)
	v_cmp_le_u32_e32 vcc_lo, s15, v15
	s_or_b32 s23, vcc_lo, s23
	s_wait_dscnt 0x0
	v_pk_add_f32 v[8:9], v[18:19], v[8:9]
	ds_store_b64 v7, v[8:9]
	s_and_not1_b32 exec_lo, exec_lo, s23
	s_cbranch_execz .LBB56_25
.LBB56_22:                              ;   Parent Loop BB56_8 Depth=1
                                        ; =>  This Loop Header: Depth=2
                                        ;       Child Loop BB56_24 Depth 3
	s_and_not1_b32 vcc_lo, exec_lo, s27
	s_cbranch_vccnz .LBB56_20
; %bb.23:                               ;   in Loop: Header=BB56_22 Depth=2
	v_dual_mov_b32 v8, 0 :: v_dual_ashrrev_i32 v7, 31, v6
	s_mov_b32 s42, 0
	s_mov_b64 s[36:37], s[18:19]
	s_delay_alu instid0(VALU_DEP_1) | instskip(NEXT) | instid1(VALU_DEP_2)
	v_lshlrev_b64_e32 v[10:11], 3, v[6:7]
	v_mov_b32_e32 v9, v8
.LBB56_24:                              ;   Parent Loop BB56_8 Depth=1
                                        ;     Parent Loop BB56_22 Depth=2
                                        ; =>    This Inner Loop Header: Depth=3
	s_delay_alu instid0(VALU_DEP_2)
	v_add_nc_u64_e32 v[16:17], s[36:37], v[10:11]
	s_add_nc_u64 s[44:45], s[36:37], s[30:31]
	s_add_co_i32 s42, s42, 1
	s_add_nc_u64 s[36:37], s[36:37], 8
	s_cmp_eq_u32 s38, s42
	s_clause 0x1
	flat_load_b64 v[18:19], v[16:17] offset:16
	flat_load_b64 v[20:21], v3, s[44:45]
	s_wait_loadcnt_dscnt 0x0
	v_pk_mul_f32 v[16:17], v[18:19], v[20:21] op_sel:[1,1] op_sel_hi:[1,0]
	s_delay_alu instid0(VALU_DEP_1) | instskip(SKIP_1) | instid1(VALU_DEP_2)
	v_pk_fma_f32 v[22:23], v[18:19], v[20:21], v[16:17] op_sel_hi:[0,1,1] neg_lo:[0,0,1] neg_hi:[0,0,1]
	v_pk_fma_f32 v[16:17], v[18:19], v[20:21], v[16:17]
	v_mov_b32_e32 v17, v23
	s_delay_alu instid0(VALU_DEP_1)
	v_pk_add_f32 v[8:9], v[8:9], v[16:17]
	s_cbranch_scc0 .LBB56_24
	s_branch .LBB56_21
.LBB56_25:                              ;   in Loop: Header=BB56_8 Depth=1
	s_or_b32 exec_lo, exec_lo, s0
.LBB56_26:                              ;   in Loop: Header=BB56_8 Depth=1
	s_delay_alu instid0(SALU_CYCLE_1)
	s_mov_b32 s0, exec_lo
	s_wait_dscnt 0x0
	s_barrier_signal -1
	s_barrier_wait -1
	v_cmpx_gt_u32_e64 s15, v0
	s_cbranch_execz .LBB56_7
; %bb.27:                               ;   in Loop: Header=BB56_8 Depth=1
	v_dual_mov_b32 v8, v14 :: v_dual_mov_b32 v9, v12
	v_mov_b32_e32 v10, v0
	s_mov_b32 s23, 0
.LBB56_28:                              ;   Parent Loop BB56_8 Depth=1
                                        ; =>  This Loop Header: Depth=2
                                        ;       Child Loop BB56_29 Depth 3
	s_delay_alu instid0(VALU_DEP_2) | instskip(NEXT) | instid1(VALU_DEP_2)
	v_dual_mov_b32 v6, 0 :: v_dual_mov_b32 v11, v8
	v_dual_mov_b32 v15, v9 :: v_dual_mov_b32 v16, v10
	s_mov_b32 s27, 0
	s_delay_alu instid0(VALU_DEP_2)
	v_mov_b32_e32 v7, v6
.LBB56_29:                              ;   Parent Loop BB56_8 Depth=1
                                        ;     Parent Loop BB56_28 Depth=2
                                        ; =>    This Inner Loop Header: Depth=3
	ds_load_b64 v[18:19], v15
	ds_load_b64 v[20:21], v11
	v_add_nc_u32_e32 v15, s11, v15
	v_add_nc_u32_e32 v11, 8, v11
	s_wait_dscnt 0x0
	v_pk_mul_f32 v[22:23], v[20:21], v[18:19] op_sel:[1,1] op_sel_hi:[0,1]
	s_delay_alu instid0(VALU_DEP_1) | instskip(SKIP_2) | instid1(VALU_DEP_3)
	v_pk_fma_f32 v[24:25], v[20:21], v[18:19], v[22:23] op_sel_hi:[1,0,1]
	v_add_nc_u32_e32 v16, 1, v16
	v_pk_fma_f32 v[18:19], v[20:21], v[18:19], v[22:23] neg_lo:[0,0,1] neg_hi:[0,0,1]
	v_mov_b32_e32 v19, v25
	s_delay_alu instid0(VALU_DEP_3) | instskip(NEXT) | instid1(VALU_DEP_2)
	v_cmp_le_u32_e32 vcc_lo, s15, v16
	v_pk_add_f32 v[6:7], v[6:7], v[18:19]
	s_or_b32 s27, vcc_lo, s27
	s_delay_alu instid0(SALU_CYCLE_1)
	s_and_not1_b32 exec_lo, exec_lo, s27
	s_cbranch_execnz .LBB56_29
; %bb.30:                               ;   in Loop: Header=BB56_28 Depth=2
	s_or_b32 exec_lo, exec_lo, s27
	v_lshl_add_u32 v11, v10, 3, s41
	v_dual_add_nc_u32 v10, s3, v10 :: v_dual_add_nc_u32 v9, s40, v9
	v_add_nc_u32_e32 v8, s6, v8
	ds_store_b64 v11, v[6:7]
	v_cmp_le_u32_e32 vcc_lo, s15, v10
	s_or_b32 s23, vcc_lo, s23
	s_delay_alu instid0(SALU_CYCLE_1)
	s_and_not1_b32 exec_lo, exec_lo, s23
	s_cbranch_execnz .LBB56_28
	s_branch .LBB56_7
.LBB56_31:
	s_wait_xcnt 0x0
	s_and_saveexec_b32 s0, s2
	s_cbranch_execz .LBB56_36
; %bb.32:
	v_add_nc_u32_e32 v3, 8, v2
	s_lshl_b32 s1, s14, 3
	s_add_co_i32 s0, s10, 1
	s_wait_kmcnt 0x0
	s_add_co_i32 s4, s1, 8
	s_mul_i32 s0, s0, s3
	v_mul_lo_u32 v3, s14, v3
	s_mov_b32 s2, 0
	s_mul_i32 s4, s4, s3
	s_delay_alu instid0(VALU_DEP_1)
	v_add3_u32 v2, v3, v2, 0
.LBB56_33:                              ; =>This Loop Header: Depth=1
                                        ;     Child Loop BB56_34 Depth 2
	s_delay_alu instid0(VALU_DEP_1)
	v_dual_mov_b32 v3, v2 :: v_dual_mov_b32 v4, v1
	v_mov_b32_e32 v5, v0
	s_mov_b32 s5, 0
.LBB56_34:                              ;   Parent Loop BB56_33 Depth=1
                                        ; =>  This Inner Loop Header: Depth=2
	ds_load_b64 v[6:7], v3
	v_dual_add_nc_u32 v5, 1, v5 :: v_dual_add_nc_u32 v3, s1, v3
	s_delay_alu instid0(VALU_DEP_1)
	v_cmp_le_i32_e32 vcc_lo, s14, v5
	s_or_b32 s5, vcc_lo, s5
	s_wait_dscnt 0x0
	global_store_b64 v4, v[6:7], s[8:9] scale_offset
	s_wait_xcnt 0x0
	v_add_nc_u32_e32 v4, s10, v4
	s_and_not1_b32 exec_lo, exec_lo, s5
	s_cbranch_execnz .LBB56_34
; %bb.35:                               ;   in Loop: Header=BB56_33 Depth=1
	s_or_b32 exec_lo, exec_lo, s5
	v_dual_add_nc_u32 v0, s3, v0 :: v_dual_add_nc_u32 v1, s0, v1
	v_add_nc_u32_e32 v2, s4, v2
	s_delay_alu instid0(VALU_DEP_2) | instskip(SKIP_1) | instid1(SALU_CYCLE_1)
	v_cmp_le_i32_e32 vcc_lo, s14, v0
	s_or_b32 s2, vcc_lo, s2
	s_and_not1_b32 exec_lo, exec_lo, s2
	s_cbranch_execnz .LBB56_33
.LBB56_36:
	s_endpgm
	.section	.rodata,"a",@progbits
	.p2align	6, 0x0
	.amdhsa_kernel _ZN9rocsolver6v33100L20larft_kernel_forwardI19rocblas_complex_numIfEPKPS3_EEv15rocblas_storev_iiT0_iilPT_lSA_il
		.amdhsa_group_segment_fixed_size 0
		.amdhsa_private_segment_fixed_size 0
		.amdhsa_kernarg_size 336
		.amdhsa_user_sgpr_count 2
		.amdhsa_user_sgpr_dispatch_ptr 0
		.amdhsa_user_sgpr_queue_ptr 0
		.amdhsa_user_sgpr_kernarg_segment_ptr 1
		.amdhsa_user_sgpr_dispatch_id 0
		.amdhsa_user_sgpr_kernarg_preload_length 0
		.amdhsa_user_sgpr_kernarg_preload_offset 0
		.amdhsa_user_sgpr_private_segment_size 0
		.amdhsa_wavefront_size32 1
		.amdhsa_uses_dynamic_stack 0
		.amdhsa_enable_private_segment 0
		.amdhsa_system_sgpr_workgroup_id_x 1
		.amdhsa_system_sgpr_workgroup_id_y 1
		.amdhsa_system_sgpr_workgroup_id_z 0
		.amdhsa_system_sgpr_workgroup_info 0
		.amdhsa_system_vgpr_workitem_id 0
		.amdhsa_next_free_vgpr 26
		.amdhsa_next_free_sgpr 46
		.amdhsa_named_barrier_count 0
		.amdhsa_reserve_vcc 1
		.amdhsa_float_round_mode_32 0
		.amdhsa_float_round_mode_16_64 0
		.amdhsa_float_denorm_mode_32 3
		.amdhsa_float_denorm_mode_16_64 3
		.amdhsa_fp16_overflow 0
		.amdhsa_memory_ordered 1
		.amdhsa_forward_progress 1
		.amdhsa_inst_pref_size 15
		.amdhsa_round_robin_scheduling 0
		.amdhsa_exception_fp_ieee_invalid_op 0
		.amdhsa_exception_fp_denorm_src 0
		.amdhsa_exception_fp_ieee_div_zero 0
		.amdhsa_exception_fp_ieee_overflow 0
		.amdhsa_exception_fp_ieee_underflow 0
		.amdhsa_exception_fp_ieee_inexact 0
		.amdhsa_exception_int_div_zero 0
	.end_amdhsa_kernel
	.section	.text._ZN9rocsolver6v33100L20larft_kernel_forwardI19rocblas_complex_numIfEPKPS3_EEv15rocblas_storev_iiT0_iilPT_lSA_il,"axG",@progbits,_ZN9rocsolver6v33100L20larft_kernel_forwardI19rocblas_complex_numIfEPKPS3_EEv15rocblas_storev_iiT0_iilPT_lSA_il,comdat
.Lfunc_end56:
	.size	_ZN9rocsolver6v33100L20larft_kernel_forwardI19rocblas_complex_numIfEPKPS3_EEv15rocblas_storev_iiT0_iilPT_lSA_il, .Lfunc_end56-_ZN9rocsolver6v33100L20larft_kernel_forwardI19rocblas_complex_numIfEPKPS3_EEv15rocblas_storev_iiT0_iilPT_lSA_il
                                        ; -- End function
	.set _ZN9rocsolver6v33100L20larft_kernel_forwardI19rocblas_complex_numIfEPKPS3_EEv15rocblas_storev_iiT0_iilPT_lSA_il.num_vgpr, 26
	.set _ZN9rocsolver6v33100L20larft_kernel_forwardI19rocblas_complex_numIfEPKPS3_EEv15rocblas_storev_iiT0_iilPT_lSA_il.num_agpr, 0
	.set _ZN9rocsolver6v33100L20larft_kernel_forwardI19rocblas_complex_numIfEPKPS3_EEv15rocblas_storev_iiT0_iilPT_lSA_il.numbered_sgpr, 46
	.set _ZN9rocsolver6v33100L20larft_kernel_forwardI19rocblas_complex_numIfEPKPS3_EEv15rocblas_storev_iiT0_iilPT_lSA_il.num_named_barrier, 0
	.set _ZN9rocsolver6v33100L20larft_kernel_forwardI19rocblas_complex_numIfEPKPS3_EEv15rocblas_storev_iiT0_iilPT_lSA_il.private_seg_size, 0
	.set _ZN9rocsolver6v33100L20larft_kernel_forwardI19rocblas_complex_numIfEPKPS3_EEv15rocblas_storev_iiT0_iilPT_lSA_il.uses_vcc, 1
	.set _ZN9rocsolver6v33100L20larft_kernel_forwardI19rocblas_complex_numIfEPKPS3_EEv15rocblas_storev_iiT0_iilPT_lSA_il.uses_flat_scratch, 1
	.set _ZN9rocsolver6v33100L20larft_kernel_forwardI19rocblas_complex_numIfEPKPS3_EEv15rocblas_storev_iiT0_iilPT_lSA_il.has_dyn_sized_stack, 0
	.set _ZN9rocsolver6v33100L20larft_kernel_forwardI19rocblas_complex_numIfEPKPS3_EEv15rocblas_storev_iiT0_iilPT_lSA_il.has_recursion, 0
	.set _ZN9rocsolver6v33100L20larft_kernel_forwardI19rocblas_complex_numIfEPKPS3_EEv15rocblas_storev_iiT0_iilPT_lSA_il.has_indirect_call, 0
	.section	.AMDGPU.csdata,"",@progbits
; Kernel info:
; codeLenInByte = 1820
; TotalNumSgprs: 48
; NumVgprs: 26
; ScratchSize: 0
; MemoryBound: 0
; FloatMode: 240
; IeeeMode: 1
; LDSByteSize: 0 bytes/workgroup (compile time only)
; SGPRBlocks: 0
; VGPRBlocks: 1
; NumSGPRsForWavesPerEU: 48
; NumVGPRsForWavesPerEU: 26
; NamedBarCnt: 0
; Occupancy: 16
; WaveLimiterHint : 0
; COMPUTE_PGM_RSRC2:SCRATCH_EN: 0
; COMPUTE_PGM_RSRC2:USER_SGPR: 2
; COMPUTE_PGM_RSRC2:TRAP_HANDLER: 0
; COMPUTE_PGM_RSRC2:TGID_X_EN: 1
; COMPUTE_PGM_RSRC2:TGID_Y_EN: 1
; COMPUTE_PGM_RSRC2:TGID_Z_EN: 0
; COMPUTE_PGM_RSRC2:TIDIG_COMP_CNT: 0
	.section	.text._ZN9rocsolver6v33100L13conj_in_placeI19rocblas_complex_numIfEiPKPS3_TnNSt9enable_ifIX18rocblas_is_complexIT_EEiE4typeELi0EEEvT0_SB_T1_lSB_l,"axG",@progbits,_ZN9rocsolver6v33100L13conj_in_placeI19rocblas_complex_numIfEiPKPS3_TnNSt9enable_ifIX18rocblas_is_complexIT_EEiE4typeELi0EEEvT0_SB_T1_lSB_l,comdat
	.globl	_ZN9rocsolver6v33100L13conj_in_placeI19rocblas_complex_numIfEiPKPS3_TnNSt9enable_ifIX18rocblas_is_complexIT_EEiE4typeELi0EEEvT0_SB_T1_lSB_l ; -- Begin function _ZN9rocsolver6v33100L13conj_in_placeI19rocblas_complex_numIfEiPKPS3_TnNSt9enable_ifIX18rocblas_is_complexIT_EEiE4typeELi0EEEvT0_SB_T1_lSB_l
	.p2align	8
	.type	_ZN9rocsolver6v33100L13conj_in_placeI19rocblas_complex_numIfEiPKPS3_TnNSt9enable_ifIX18rocblas_is_complexIT_EEiE4typeELi0EEEvT0_SB_T1_lSB_l,@function
_ZN9rocsolver6v33100L13conj_in_placeI19rocblas_complex_numIfEiPKPS3_TnNSt9enable_ifIX18rocblas_is_complexIT_EEiE4typeELi0EEEvT0_SB_T1_lSB_l: ; @_ZN9rocsolver6v33100L13conj_in_placeI19rocblas_complex_numIfEiPKPS3_TnNSt9enable_ifIX18rocblas_is_complexIT_EEiE4typeELi0EEEvT0_SB_T1_lSB_l
; %bb.0:
	s_clause 0x1
	s_load_b32 s2, s[0:1], 0x34
	s_load_b64 s[4:5], s[0:1], 0x0
	s_bfe_u32 s7, ttmp6, 0x40010
	s_bfe_u32 s10, ttmp6, 0x4000c
	s_and_b32 s6, ttmp7, 0xffff
	s_add_co_i32 s7, s7, 1
	s_add_co_i32 s10, s10, 1
	s_bfe_u32 s8, ttmp6, 0x40004
	s_and_b32 s9, ttmp6, 15
	s_mul_i32 s7, s6, s7
	s_mul_i32 s10, ttmp9, s10
	s_getreg_b32 s3, hwreg(HW_REG_IB_STS2, 6, 4)
	v_and_b32_e32 v1, 0x3ff, v0
	v_bfe_u32 v2, v0, 10, 10
	s_add_co_i32 s8, s8, s7
	s_add_co_i32 s9, s9, s10
	s_wait_kmcnt 0x0
	s_lshr_b32 s7, s2, 16
	s_and_b32 s2, s2, 0xffff
	s_cmp_eq_u32 s3, 0
	s_cselect_b32 s9, ttmp9, s9
	s_cselect_b32 s6, s6, s8
	v_mad_u32 v0, s9, s2, v1
	v_mad_u32 v2, s6, s7, v2
	s_delay_alu instid0(VALU_DEP_2) | instskip(NEXT) | instid1(VALU_DEP_2)
	v_cmp_gt_i32_e32 vcc_lo, s4, v0
	v_cmp_gt_i32_e64 s2, s5, v2
	s_and_b32 s2, vcc_lo, s2
	s_delay_alu instid0(SALU_CYCLE_1)
	s_and_saveexec_b32 s4, s2
	s_cbranch_execz .LBB57_2
; %bb.1:
	s_clause 0x1
	s_load_b32 s8, s[0:1], 0x18
	s_load_b128 s[4:7], s[0:1], 0x8
	v_dual_ashrrev_i32 v3, 31, v2 :: v_dual_ashrrev_i32 v1, 31, v0
	s_wait_xcnt 0x0
	s_bfe_u32 s0, ttmp6, 0x40014
	s_lshr_b32 s1, ttmp7, 16
	s_add_co_i32 s0, s0, 1
	s_bfe_u32 s2, ttmp6, 0x40008
	s_mul_i32 s0, s1, s0
	s_delay_alu instid0(SALU_CYCLE_1)
	s_add_co_i32 s2, s2, s0
	s_wait_kmcnt 0x0
	s_ashr_i32 s9, s8, 31
	s_cmp_eq_u32 s3, 0
	v_mul_u64_e32 v[4:5], s[8:9], v[2:3]
	s_cselect_b32 s0, s1, s2
	s_lshl_b64 s[2:3], s[6:7], 3
	s_load_b64 s[0:1], s[4:5], s0 offset:0x0 scale_offset
	s_wait_kmcnt 0x0
	s_add_nc_u64 s[0:1], s[0:1], s[2:3]
	s_delay_alu instid0(VALU_DEP_1) | instid1(SALU_CYCLE_1)
	v_lshl_add_u64 v[4:5], v[4:5], 3, s[0:1]
	s_delay_alu instid0(VALU_DEP_1)
	v_lshl_add_u64 v[4:5], v[0:1], 3, v[4:5]
	v_mad_u32 v0, v2, s8, v0
	flat_load_b64 v[4:5], v[4:5]
	s_wait_loadcnt_dscnt 0x0
	v_xor_b32_e32 v5, 0x80000000, v5
	flat_store_b64 v0, v[4:5], s[0:1] scale_offset
.LBB57_2:
	s_endpgm
	.section	.rodata,"a",@progbits
	.p2align	6, 0x0
	.amdhsa_kernel _ZN9rocsolver6v33100L13conj_in_placeI19rocblas_complex_numIfEiPKPS3_TnNSt9enable_ifIX18rocblas_is_complexIT_EEiE4typeELi0EEEvT0_SB_T1_lSB_l
		.amdhsa_group_segment_fixed_size 0
		.amdhsa_private_segment_fixed_size 0
		.amdhsa_kernarg_size 296
		.amdhsa_user_sgpr_count 2
		.amdhsa_user_sgpr_dispatch_ptr 0
		.amdhsa_user_sgpr_queue_ptr 0
		.amdhsa_user_sgpr_kernarg_segment_ptr 1
		.amdhsa_user_sgpr_dispatch_id 0
		.amdhsa_user_sgpr_kernarg_preload_length 0
		.amdhsa_user_sgpr_kernarg_preload_offset 0
		.amdhsa_user_sgpr_private_segment_size 0
		.amdhsa_wavefront_size32 1
		.amdhsa_uses_dynamic_stack 0
		.amdhsa_enable_private_segment 0
		.amdhsa_system_sgpr_workgroup_id_x 1
		.amdhsa_system_sgpr_workgroup_id_y 1
		.amdhsa_system_sgpr_workgroup_id_z 1
		.amdhsa_system_sgpr_workgroup_info 0
		.amdhsa_system_vgpr_workitem_id 1
		.amdhsa_next_free_vgpr 6
		.amdhsa_next_free_sgpr 11
		.amdhsa_named_barrier_count 0
		.amdhsa_reserve_vcc 1
		.amdhsa_float_round_mode_32 0
		.amdhsa_float_round_mode_16_64 0
		.amdhsa_float_denorm_mode_32 3
		.amdhsa_float_denorm_mode_16_64 3
		.amdhsa_fp16_overflow 0
		.amdhsa_memory_ordered 1
		.amdhsa_forward_progress 1
		.amdhsa_inst_pref_size 3
		.amdhsa_round_robin_scheduling 0
		.amdhsa_exception_fp_ieee_invalid_op 0
		.amdhsa_exception_fp_denorm_src 0
		.amdhsa_exception_fp_ieee_div_zero 0
		.amdhsa_exception_fp_ieee_overflow 0
		.amdhsa_exception_fp_ieee_underflow 0
		.amdhsa_exception_fp_ieee_inexact 0
		.amdhsa_exception_int_div_zero 0
	.end_amdhsa_kernel
	.section	.text._ZN9rocsolver6v33100L13conj_in_placeI19rocblas_complex_numIfEiPKPS3_TnNSt9enable_ifIX18rocblas_is_complexIT_EEiE4typeELi0EEEvT0_SB_T1_lSB_l,"axG",@progbits,_ZN9rocsolver6v33100L13conj_in_placeI19rocblas_complex_numIfEiPKPS3_TnNSt9enable_ifIX18rocblas_is_complexIT_EEiE4typeELi0EEEvT0_SB_T1_lSB_l,comdat
.Lfunc_end57:
	.size	_ZN9rocsolver6v33100L13conj_in_placeI19rocblas_complex_numIfEiPKPS3_TnNSt9enable_ifIX18rocblas_is_complexIT_EEiE4typeELi0EEEvT0_SB_T1_lSB_l, .Lfunc_end57-_ZN9rocsolver6v33100L13conj_in_placeI19rocblas_complex_numIfEiPKPS3_TnNSt9enable_ifIX18rocblas_is_complexIT_EEiE4typeELi0EEEvT0_SB_T1_lSB_l
                                        ; -- End function
	.set _ZN9rocsolver6v33100L13conj_in_placeI19rocblas_complex_numIfEiPKPS3_TnNSt9enable_ifIX18rocblas_is_complexIT_EEiE4typeELi0EEEvT0_SB_T1_lSB_l.num_vgpr, 6
	.set _ZN9rocsolver6v33100L13conj_in_placeI19rocblas_complex_numIfEiPKPS3_TnNSt9enable_ifIX18rocblas_is_complexIT_EEiE4typeELi0EEEvT0_SB_T1_lSB_l.num_agpr, 0
	.set _ZN9rocsolver6v33100L13conj_in_placeI19rocblas_complex_numIfEiPKPS3_TnNSt9enable_ifIX18rocblas_is_complexIT_EEiE4typeELi0EEEvT0_SB_T1_lSB_l.numbered_sgpr, 11
	.set _ZN9rocsolver6v33100L13conj_in_placeI19rocblas_complex_numIfEiPKPS3_TnNSt9enable_ifIX18rocblas_is_complexIT_EEiE4typeELi0EEEvT0_SB_T1_lSB_l.num_named_barrier, 0
	.set _ZN9rocsolver6v33100L13conj_in_placeI19rocblas_complex_numIfEiPKPS3_TnNSt9enable_ifIX18rocblas_is_complexIT_EEiE4typeELi0EEEvT0_SB_T1_lSB_l.private_seg_size, 0
	.set _ZN9rocsolver6v33100L13conj_in_placeI19rocblas_complex_numIfEiPKPS3_TnNSt9enable_ifIX18rocblas_is_complexIT_EEiE4typeELi0EEEvT0_SB_T1_lSB_l.uses_vcc, 1
	.set _ZN9rocsolver6v33100L13conj_in_placeI19rocblas_complex_numIfEiPKPS3_TnNSt9enable_ifIX18rocblas_is_complexIT_EEiE4typeELi0EEEvT0_SB_T1_lSB_l.uses_flat_scratch, 0
	.set _ZN9rocsolver6v33100L13conj_in_placeI19rocblas_complex_numIfEiPKPS3_TnNSt9enable_ifIX18rocblas_is_complexIT_EEiE4typeELi0EEEvT0_SB_T1_lSB_l.has_dyn_sized_stack, 0
	.set _ZN9rocsolver6v33100L13conj_in_placeI19rocblas_complex_numIfEiPKPS3_TnNSt9enable_ifIX18rocblas_is_complexIT_EEiE4typeELi0EEEvT0_SB_T1_lSB_l.has_recursion, 0
	.set _ZN9rocsolver6v33100L13conj_in_placeI19rocblas_complex_numIfEiPKPS3_TnNSt9enable_ifIX18rocblas_is_complexIT_EEiE4typeELi0EEEvT0_SB_T1_lSB_l.has_indirect_call, 0
	.section	.AMDGPU.csdata,"",@progbits
; Kernel info:
; codeLenInByte = 360
; TotalNumSgprs: 13
; NumVgprs: 6
; ScratchSize: 0
; MemoryBound: 0
; FloatMode: 240
; IeeeMode: 1
; LDSByteSize: 0 bytes/workgroup (compile time only)
; SGPRBlocks: 0
; VGPRBlocks: 0
; NumSGPRsForWavesPerEU: 13
; NumVGPRsForWavesPerEU: 6
; NamedBarCnt: 0
; Occupancy: 16
; WaveLimiterHint : 1
; COMPUTE_PGM_RSRC2:SCRATCH_EN: 0
; COMPUTE_PGM_RSRC2:USER_SGPR: 2
; COMPUTE_PGM_RSRC2:TRAP_HANDLER: 0
; COMPUTE_PGM_RSRC2:TGID_X_EN: 1
; COMPUTE_PGM_RSRC2:TGID_Y_EN: 1
; COMPUTE_PGM_RSRC2:TGID_Z_EN: 1
; COMPUTE_PGM_RSRC2:TIDIG_COMP_CNT: 1
	.section	.text._ZN9rocsolver6v33100L21larft_kernel_backwardI19rocblas_complex_numIfEPKPS3_EEv15rocblas_storev_iiT0_iilPT_lSA_il,"axG",@progbits,_ZN9rocsolver6v33100L21larft_kernel_backwardI19rocblas_complex_numIfEPKPS3_EEv15rocblas_storev_iiT0_iilPT_lSA_il,comdat
	.globl	_ZN9rocsolver6v33100L21larft_kernel_backwardI19rocblas_complex_numIfEPKPS3_EEv15rocblas_storev_iiT0_iilPT_lSA_il ; -- Begin function _ZN9rocsolver6v33100L21larft_kernel_backwardI19rocblas_complex_numIfEPKPS3_EEv15rocblas_storev_iiT0_iilPT_lSA_il
	.p2align	8
	.type	_ZN9rocsolver6v33100L21larft_kernel_backwardI19rocblas_complex_numIfEPKPS3_EEv15rocblas_storev_iiT0_iilPT_lSA_il,@function
_ZN9rocsolver6v33100L21larft_kernel_backwardI19rocblas_complex_numIfEPKPS3_EEv15rocblas_storev_iiT0_iilPT_lSA_il: ; @_ZN9rocsolver6v33100L21larft_kernel_backwardI19rocblas_complex_numIfEPKPS3_EEv15rocblas_storev_iiT0_iilPT_lSA_il
; %bb.0:
	s_clause 0x1
	s_load_b32 s2, s[0:1], 0x5c
	s_load_b64 s[4:5], s[0:1], 0x10
	s_bfe_u32 s3, ttmp6, 0x40010
	s_bfe_u32 s6, ttmp6, 0x40004
	s_add_co_i32 s3, s3, 1
	s_getreg_b32 s7, hwreg(HW_REG_IB_STS2, 6, 4)
	s_mul_i32 s3, ttmp7, s3
	s_clause 0x1
	s_load_b64 s[18:19], s[0:1], 0x48
	s_load_b96 s[8:10], s[0:1], 0x0
	s_add_co_i32 s6, s6, s3
	v_dual_add_nc_u32 v1, 1, v0 :: v_dual_lshlrev_b32 v2, 3, v0
	s_mov_b32 s11, 0
	s_wait_kmcnt 0x0
	s_and_b32 s3, s2, 0xffff
	s_cmp_eq_u32 s7, 0
	s_cselect_b32 s16, ttmp7, s6
	s_delay_alu instid0(SALU_CYCLE_1) | instskip(NEXT) | instid1(SALU_CYCLE_1)
	s_ashr_i32 s17, s16, 31
	s_lshl_b64 s[6:7], s[16:17], 3
	s_mul_u64 s[18:19], s[18:19], s[16:17]
	s_add_nc_u64 s[22:23], s[4:5], s[6:7]
	s_clause 0x1
	s_load_b96 s[12:14], s[0:1], 0x38
	s_load_b128 s[4:7], s[0:1], 0x28
	s_load_b64 s[20:21], s[22:23], 0x0
	v_cmp_gt_i32_e64 s2, s10, v0
	s_lshl_b64 s[18:19], s[18:19], 3
	s_wait_kmcnt 0x0
	s_add_nc_u64 s[12:13], s[12:13], s[18:19]
	s_and_saveexec_b32 s15, s2
	s_cbranch_execz .LBB58_5
; %bb.1:
	s_lshl_b32 s18, s10, 3
	v_dual_add_nc_u32 v3, 1, v0 :: v_dual_mov_b32 v5, v0
	v_add3_u32 v4, 0, s18, v2
	s_lshl_b32 s19, s3, 3
.LBB58_2:                               ; =>This Loop Header: Depth=1
                                        ;     Child Loop BB58_3 Depth 2
	s_delay_alu instid0(VALU_DEP_1)
	v_dual_mov_b32 v6, v5 :: v_dual_mov_b32 v7, v4
	s_mov_b32 s22, 0
	s_mov_b32 s23, 0
.LBB58_3:                               ;   Parent Loop BB58_2 Depth=1
                                        ; =>  This Inner Loop Header: Depth=2
	global_load_b64 v[8:9], v6, s[12:13] scale_offset
	s_add_co_i32 s23, s23, 1
	s_wait_xcnt 0x0
	v_add_nc_u32_e32 v6, s14, v6
	v_cmp_eq_u32_e32 vcc_lo, s23, v3
	s_or_b32 s22, vcc_lo, s22
	s_wait_loadcnt 0x0
	ds_store_b64 v7, v[8:9]
	v_add_nc_u32_e32 v7, s18, v7
	s_and_not1_b32 exec_lo, exec_lo, s22
	s_cbranch_execnz .LBB58_3
; %bb.4:                                ;   in Loop: Header=BB58_2 Depth=1
	s_or_b32 exec_lo, exec_lo, s22
	v_dual_add_nc_u32 v5, s3, v5 :: v_dual_add_nc_u32 v3, s3, v3
	v_add_nc_u32_e32 v4, s19, v4
	s_delay_alu instid0(VALU_DEP_2) | instskip(SKIP_1) | instid1(SALU_CYCLE_1)
	v_cmp_le_i32_e32 vcc_lo, s10, v5
	s_or_b32 s11, vcc_lo, s11
	s_and_not1_b32 exec_lo, exec_lo, s11
	s_cbranch_execnz .LBB58_2
.LBB58_5:
	s_or_b32 exec_lo, exec_lo, s15
	s_cmp_lt_i32 s10, 2
	s_wait_dscnt 0x0
	s_barrier_signal -1
	s_barrier_wait -1
	s_cbranch_scc1 .LBB58_31
; %bb.6:
	s_load_b64 s[0:1], s[0:1], 0x18
	s_mul_u64 s[16:17], s[6:7], s[16:17]
	s_lshl_b32 s11, s10, 3
	s_lshl_b64 s[18:19], s[16:17], 3
	s_add_co_i32 s6, s10, -2
	s_sub_co_i32 s15, s9, s10
	s_add_co_i32 s33, s11, 0
	s_add_nc_u64 s[4:5], s[4:5], s[18:19]
	s_mov_b32 s7, 0
	v_mov_b32_e32 v3, 0
	s_mov_b32 s17, s7
	s_wait_kmcnt 0x0
	s_ashr_i32 s19, s0, 31
	s_cmp_lg_u32 s8, 0xb5
	s_mov_b32 s18, s0
	s_cselect_b32 s40, -1, 0
	s_add_co_i32 s41, s9, -2
	s_lshl_b64 s[8:9], s[6:7], 3
	s_lshl_b64 s[18:19], s[18:19], 3
	s_add_nc_u64 s[24:25], s[20:21], s[8:9]
	v_mul_lo_u32 v12, v0, s1
	s_add_nc_u64 s[24:25], s[24:25], s[18:19]
	s_add_co_i32 s7, s11, 8
	v_add_nc_u64_e32 v[4:5], s[24:25], v[2:3]
	s_mul_i32 s7, s10, s7
	s_mov_b32 s22, s1
	s_add_co_i32 s7, s7, 0
	s_ashr_i32 s23, s1, 31
	v_add3_u32 v13, s7, v2, -8
	s_add_co_i32 s0, s10, -1
	v_add_nc_u64_e32 v[4:5], 8, v[4:5]
	s_add_nc_u64 s[24:25], s[18:19], s[8:9]
	s_add_nc_u64 s[18:19], s[20:21], s[18:19]
	s_lshl_b32 s16, s3, 3
	s_lshl_b64 s[8:9], s[22:23], 3
	s_add_nc_u64 s[20:21], s[20:21], s[24:25]
	s_add_nc_u64 s[22:23], s[18:19], 4
	s_mul_i32 s24, s1, s0
	s_mul_i32 s7, s1, s3
	;; [unrolled: 1-line block ×3, first 2 shown]
	s_xor_b32 s42, s11, -8
	s_branch .LBB58_8
.LBB58_7:                               ;   in Loop: Header=BB58_8 Depth=1
	s_or_b32 exec_lo, exec_lo, s0
	v_add_nc_u64_e32 v[4:5], -8, v[4:5]
	v_add_nc_u32_e32 v13, s42, v13
	s_add_co_i32 s0, s6, -1
	s_add_co_i32 s41, s41, -1
	s_sub_co_i32 s24, s24, s1
	s_sub_co_i32 s26, s26, s1
	s_add_nc_u64 s[20:21], s[20:21], -8
	s_cmp_lt_i32 s6, 1
	s_mov_b32 s6, s0
	s_wait_dscnt 0x0
	s_barrier_signal -1
	s_barrier_wait -1
	s_cbranch_scc1 .LBB58_31
.LBB58_8:                               ; =>This Loop Header: Depth=1
                                        ;     Child Loop BB58_13 Depth 2
                                        ;       Child Loop BB58_15 Depth 3
                                        ;     Child Loop BB58_22 Depth 2
                                        ;       Child Loop BB58_24 Depth 3
	;; [unrolled: 2-line block ×3, first 2 shown]
	s_not_b32 s0, s6
	s_lshl_b32 s25, s6, 3
	s_add_co_i32 s43, s10, s0
	s_mul_i32 s0, s6, s10
	s_add_co_i32 s44, s33, s25
	s_lshl_b32 s0, s0, 3
	s_add_co_i32 s36, s6, s15
	s_add_co_i32 s44, s44, s0
	v_cmp_gt_i32_e64 s0, s43, v0
	s_and_b32 vcc_lo, exec_lo, s40
	s_mov_b32 s25, -1
	s_cbranch_vccz .LBB58_17
; %bb.9:                                ;   in Loop: Header=BB58_8 Depth=1
	s_and_saveexec_b32 s25, s0
	s_cbranch_execz .LBB58_16
; %bb.10:                               ;   in Loop: Header=BB58_8 Depth=1
	s_load_b64 s[28:29], s[4:5], s6 offset:0x0 scale_offset
	v_mov_b64_e32 v[6:7], v[4:5]
	v_mov_b32_e32 v10, v0
	s_cmp_gt_i32 s36, 0
	s_mov_b32 s0, 0
	s_cselect_b32 s27, -1, 0
	s_wait_kmcnt 0x0
	s_mov_b32 s30, s28
	s_mov_b32 s31, s28
	;; [unrolled: 1-line block ×3, first 2 shown]
	s_branch .LBB58_13
.LBB58_11:                              ;   in Loop: Header=BB58_13 Depth=2
	v_mov_b32_e32 v9, 0
	s_delay_alu instid0(VALU_DEP_1)
	v_mov_b32_e32 v8, v9
.LBB58_12:                              ;   in Loop: Header=BB58_13 Depth=2
	s_delay_alu instid0(VALU_DEP_1) | instskip(SKIP_2) | instid1(VALU_DEP_3)
	v_dual_mov_b32 v14, v9 :: v_dual_lshlrev_b32 v11, 3, v10
	v_mov_b64_e32 v[16:17], s[28:29]
	v_add_nc_u64_e32 v[6:7], s[16:17], v[6:7]
	v_dual_mov_b32 v15, v8 :: v_dual_add_nc_u32 v18, s44, v11
	v_add_nc_u32_e32 v11, 0, v11
	s_delay_alu instid0(VALU_DEP_2) | instskip(SKIP_2) | instid1(VALU_DEP_1)
	v_pk_mul_f32 v[14:15], v[14:15], v[16:17]
	ds_load_b64 v[18:19], v18 offset:8
	v_mov_b64_e32 v[16:17], s[30:31]
	v_pk_fma_f32 v[20:21], v[8:9], v[16:17], v[14:15]
	v_add_nc_u32_e32 v10, s3, v10
	v_pk_fma_f32 v[8:9], v[8:9], v[16:17], v[14:15] neg_lo:[0,0,1] neg_hi:[0,0,1]
	s_delay_alu instid0(VALU_DEP_3) | instskip(NEXT) | instid1(VALU_DEP_3)
	v_mov_b32_e32 v9, v21
	v_cmp_le_i32_e32 vcc_lo, s43, v10
	s_or_b32 s0, vcc_lo, s0
	s_wait_dscnt 0x0
	s_delay_alu instid0(VALU_DEP_2)
	v_pk_add_f32 v[8:9], v[18:19], v[8:9]
	ds_store_b64 v11, v[8:9]
	s_and_not1_b32 exec_lo, exec_lo, s0
	s_cbranch_execz .LBB58_16
.LBB58_13:                              ;   Parent Loop BB58_8 Depth=1
                                        ; =>  This Loop Header: Depth=2
                                        ;       Child Loop BB58_15 Depth 3
	s_and_not1_b32 vcc_lo, exec_lo, s27
	s_cbranch_vccnz .LBB58_11
; %bb.14:                               ;   in Loop: Header=BB58_13 Depth=2
	v_mov_b32_e32 v8, 0
	s_mov_b32 s37, 0
	s_mov_b64 s[34:35], 0
	s_delay_alu instid0(VALU_DEP_1)
	v_mov_b32_e32 v9, v8
.LBB58_15:                              ;   Parent Loop BB58_8 Depth=1
                                        ;     Parent Loop BB58_13 Depth=2
                                        ; =>    This Inner Loop Header: Depth=3
	v_add_nc_u64_e32 v[14:15], s[34:35], v[6:7]
	s_add_nc_u64 s[38:39], s[20:21], s[34:35]
	s_add_co_i32 s37, s37, 1
	s_add_nc_u64 s[34:35], s[34:35], s[8:9]
	s_cmp_eq_u32 s41, s37
	flat_load_b64 v[16:17], v3, s[38:39]
	flat_load_b64 v[18:19], v[14:15]
	s_wait_loadcnt_dscnt 0x0
	s_wait_xcnt 0x0
	v_pk_mul_f32 v[14:15], v[16:17], v[18:19] op_sel_hi:[1,0]
	v_mov_b32_e32 v20, v19
	s_delay_alu instid0(VALU_DEP_2) | instskip(NEXT) | instid1(VALU_DEP_2)
	v_pk_fma_f32 v[18:19], v[16:17], v[18:19], v[14:15] op_sel:[1,1,0] op_sel_hi:[0,1,1] neg_lo:[0,0,1] neg_hi:[0,0,1]
	v_pk_fma_f32 v[14:15], v[16:17], v[20:21], v[14:15] op_sel:[1,0,0] op_sel_hi:[0,1,1]
	s_delay_alu instid0(VALU_DEP_2) | instskip(NEXT) | instid1(VALU_DEP_1)
	v_mov_b32_e32 v15, v19
	v_pk_add_f32 v[8:9], v[8:9], v[14:15]
	s_cbranch_scc0 .LBB58_15
	s_branch .LBB58_12
.LBB58_16:                              ;   in Loop: Header=BB58_8 Depth=1
	s_or_b32 exec_lo, exec_lo, s25
	s_mov_b32 s25, 0
.LBB58_17:                              ;   in Loop: Header=BB58_8 Depth=1
	s_delay_alu instid0(SALU_CYCLE_1)
	s_and_not1_b32 vcc_lo, exec_lo, s25
	s_cbranch_vccnz .LBB58_26
; %bb.18:                               ;   in Loop: Header=BB58_8 Depth=1
	s_mov_b32 s0, exec_lo
	v_cmpx_gt_i32_e64 s43, v0
	s_cbranch_execz .LBB58_25
; %bb.19:                               ;   in Loop: Header=BB58_8 Depth=1
	s_load_b64 s[28:29], s[4:5], s6 offset:0x0 scale_offset
	s_ashr_i32 s25, s24, 31
	s_ashr_i32 s27, s26, 31
	v_dual_mov_b32 v6, v12 :: v_dual_mov_b32 v14, v0
	s_lshl_b64 s[38:39], s[24:25], 3
	s_lshl_b64 s[30:31], s[26:27], 3
	s_cmp_gt_i32 s36, 0
	s_mov_b32 s45, 0
	s_add_nc_u64 s[30:31], s[18:19], s[30:31]
	s_cselect_b32 s25, -1, 0
	s_add_nc_u64 s[36:37], s[22:23], s[38:39]
	s_wait_kmcnt 0x0
	s_mov_b32 s34, s28
	s_mov_b32 s35, s28
	;; [unrolled: 1-line block ×3, first 2 shown]
	s_branch .LBB58_22
.LBB58_20:                              ;   in Loop: Header=BB58_22 Depth=2
	v_mov_b32_e32 v9, 0
	s_delay_alu instid0(VALU_DEP_1)
	v_mov_b32_e32 v8, v9
.LBB58_21:                              ;   in Loop: Header=BB58_22 Depth=2
	s_delay_alu instid0(VALU_DEP_1) | instskip(SKIP_1) | instid1(VALU_DEP_3)
	v_dual_mov_b32 v10, v9 :: v_dual_lshlrev_b32 v7, 3, v14
	v_mov_b64_e32 v[16:17], s[28:29]
	v_dual_mov_b32 v11, v8 :: v_dual_add_nc_u32 v6, s7, v6
	s_delay_alu instid0(VALU_DEP_3) | instskip(NEXT) | instid1(VALU_DEP_2)
	v_dual_add_nc_u32 v15, s44, v7 :: v_dual_add_nc_u32 v7, 0, v7
	v_pk_mul_f32 v[10:11], v[10:11], v[16:17]
	ds_load_b64 v[18:19], v15 offset:8
	v_mov_b64_e32 v[16:17], s[34:35]
	s_delay_alu instid0(VALU_DEP_1) | instskip(SKIP_2) | instid1(VALU_DEP_3)
	v_pk_fma_f32 v[20:21], v[8:9], v[16:17], v[10:11]
	v_add_nc_u32_e32 v14, s3, v14
	v_pk_fma_f32 v[8:9], v[8:9], v[16:17], v[10:11] neg_lo:[0,0,1] neg_hi:[0,0,1]
	v_mov_b32_e32 v9, v21
	s_delay_alu instid0(VALU_DEP_3) | instskip(SKIP_2) | instid1(VALU_DEP_2)
	v_cmp_le_i32_e32 vcc_lo, s43, v14
	s_or_b32 s45, vcc_lo, s45
	s_wait_dscnt 0x0
	v_pk_add_f32 v[8:9], v[18:19], v[8:9]
	ds_store_b64 v7, v[8:9]
	s_and_not1_b32 exec_lo, exec_lo, s45
	s_cbranch_execz .LBB58_25
.LBB58_22:                              ;   Parent Loop BB58_8 Depth=1
                                        ; =>  This Loop Header: Depth=2
                                        ;       Child Loop BB58_24 Depth 3
	s_and_not1_b32 vcc_lo, exec_lo, s25
	s_cbranch_vccnz .LBB58_20
; %bb.23:                               ;   in Loop: Header=BB58_22 Depth=2
	v_dual_mov_b32 v8, 0 :: v_dual_ashrrev_i32 v7, 31, v6
	s_mov_b32 s27, 0
	s_mov_b64 s[38:39], s[30:31]
	s_delay_alu instid0(VALU_DEP_1) | instskip(NEXT) | instid1(VALU_DEP_2)
	v_lshl_add_u64 v[10:11], v[6:7], 3, s[36:37]
	v_mov_b32_e32 v9, v8
.LBB58_24:                              ;   Parent Loop BB58_8 Depth=1
                                        ;     Parent Loop BB58_22 Depth=2
                                        ; =>    This Inner Loop Header: Depth=3
	flat_load_b64 v[16:17], v[10:11] offset:-4
	flat_load_b64 v[18:19], v3, s[38:39]
	s_wait_xcnt 0x1
	v_add_nc_u64_e32 v[10:11], 8, v[10:11]
	s_add_co_i32 s27, s27, 1
	s_wait_xcnt 0x0
	s_add_nc_u64 s[38:39], s[38:39], 8
	s_cmp_eq_u32 s41, s27
	s_wait_loadcnt_dscnt 0x0
	v_pk_mul_f32 v[20:21], v[16:17], v[18:19] op_sel:[1,1] op_sel_hi:[1,0]
	s_delay_alu instid0(VALU_DEP_1) | instskip(SKIP_1) | instid1(VALU_DEP_2)
	v_pk_fma_f32 v[22:23], v[16:17], v[18:19], v[20:21] op_sel_hi:[0,1,1] neg_lo:[0,0,1] neg_hi:[0,0,1]
	v_pk_fma_f32 v[16:17], v[16:17], v[18:19], v[20:21]
	v_mov_b32_e32 v17, v23
	s_delay_alu instid0(VALU_DEP_1)
	v_pk_add_f32 v[8:9], v[8:9], v[16:17]
	s_cbranch_scc0 .LBB58_24
	s_branch .LBB58_21
.LBB58_25:                              ;   in Loop: Header=BB58_8 Depth=1
	s_or_b32 exec_lo, exec_lo, s0
.LBB58_26:                              ;   in Loop: Header=BB58_8 Depth=1
	s_delay_alu instid0(SALU_CYCLE_1)
	s_mov_b32 s0, exec_lo
	s_wait_dscnt 0x0
	s_barrier_signal -1
	s_barrier_wait -1
	v_cmpx_gt_i32_e64 s43, v0
	s_cbranch_execz .LBB58_7
; %bb.27:                               ;   in Loop: Header=BB58_8 Depth=1
	v_dual_mov_b32 v8, v13 :: v_dual_mov_b32 v9, v0
	s_mov_b32 s25, 0
.LBB58_28:                              ;   Parent Loop BB58_8 Depth=1
                                        ; =>  This Loop Header: Depth=2
                                        ;       Child Loop BB58_29 Depth 3
	s_delay_alu instid0(VALU_DEP_1) | instskip(SKIP_3) | instid1(VALU_DEP_1)
	v_dual_mov_b32 v6, 0 :: v_dual_mov_b32 v10, v8
	s_mov_b32 s28, -1
	s_mov_b32 s27, 0
	s_mov_b32 s29, 0
	v_mov_b32_e32 v7, v6
.LBB58_29:                              ;   Parent Loop BB58_8 Depth=1
                                        ;     Parent Loop BB58_28 Depth=2
                                        ; =>    This Inner Loop Header: Depth=3
	v_mov_b32_e32 v11, s29
	s_add_co_i32 s28, s28, 1
	s_add_co_i32 s29, s29, 8
	v_cmp_eq_u32_e32 vcc_lo, s28, v9
	ds_load_b64 v[14:15], v10
	ds_load_b64 v[16:17], v11
	v_add_nc_u32_e32 v10, s11, v10
	s_or_b32 s27, vcc_lo, s27
	s_wait_dscnt 0x0
	v_pk_mul_f32 v[18:19], v[16:17], v[14:15] op_sel:[1,1] op_sel_hi:[0,1]
	s_delay_alu instid0(VALU_DEP_1) | instskip(SKIP_1) | instid1(VALU_DEP_2)
	v_pk_fma_f32 v[20:21], v[16:17], v[14:15], v[18:19] op_sel_hi:[1,0,1]
	v_pk_fma_f32 v[14:15], v[16:17], v[14:15], v[18:19] neg_lo:[0,0,1] neg_hi:[0,0,1]
	v_mov_b32_e32 v15, v21
	s_delay_alu instid0(VALU_DEP_1)
	v_pk_add_f32 v[6:7], v[6:7], v[14:15]
	s_and_not1_b32 exec_lo, exec_lo, s27
	s_cbranch_execnz .LBB58_29
; %bb.30:                               ;   in Loop: Header=BB58_28 Depth=2
	s_or_b32 exec_lo, exec_lo, s27
	v_lshl_add_u32 v10, v9, 3, s44
	v_dual_add_nc_u32 v9, s3, v9 :: v_dual_add_nc_u32 v8, s16, v8
	ds_store_b64 v10, v[6:7] offset:8
	v_cmp_le_i32_e32 vcc_lo, s43, v9
	s_or_b32 s25, vcc_lo, s25
	s_delay_alu instid0(SALU_CYCLE_1)
	s_and_not1_b32 exec_lo, exec_lo, s25
	s_cbranch_execnz .LBB58_28
	s_branch .LBB58_7
.LBB58_31:
	s_and_saveexec_b32 s0, s2
	s_cbranch_execz .LBB58_36
; %bb.32:
	s_lshl_b32 s0, s10, 3
	s_mov_b32 s1, 0
	v_add3_u32 v2, 0, s0, v2
	s_lshl_b32 s2, s3, 3
.LBB58_33:                              ; =>This Loop Header: Depth=1
                                        ;     Child Loop BB58_34 Depth 2
	s_delay_alu instid0(VALU_DEP_1)
	v_dual_mov_b32 v3, v2 :: v_dual_mov_b32 v4, v0
	s_mov_b32 s4, 0
	s_mov_b32 s5, 0
.LBB58_34:                              ;   Parent Loop BB58_33 Depth=1
                                        ; =>  This Inner Loop Header: Depth=2
	ds_load_b64 v[6:7], v3
	s_add_co_i32 s5, s5, 1
	v_add_nc_u32_e32 v3, s0, v3
	v_cmp_eq_u32_e32 vcc_lo, s5, v1
	s_or_b32 s4, vcc_lo, s4
	s_wait_dscnt 0x0
	global_store_b64 v4, v[6:7], s[12:13] scale_offset
	s_wait_xcnt 0x0
	v_add_nc_u32_e32 v4, s14, v4
	s_and_not1_b32 exec_lo, exec_lo, s4
	s_cbranch_execnz .LBB58_34
; %bb.35:                               ;   in Loop: Header=BB58_33 Depth=1
	s_or_b32 exec_lo, exec_lo, s4
	v_dual_add_nc_u32 v0, s3, v0 :: v_dual_add_nc_u32 v1, s3, v1
	v_add_nc_u32_e32 v2, s2, v2
	s_delay_alu instid0(VALU_DEP_2) | instskip(SKIP_1) | instid1(SALU_CYCLE_1)
	v_cmp_le_i32_e32 vcc_lo, s10, v0
	s_or_b32 s1, vcc_lo, s1
	s_and_not1_b32 exec_lo, exec_lo, s1
	s_cbranch_execnz .LBB58_33
.LBB58_36:
	s_endpgm
	.section	.rodata,"a",@progbits
	.p2align	6, 0x0
	.amdhsa_kernel _ZN9rocsolver6v33100L21larft_kernel_backwardI19rocblas_complex_numIfEPKPS3_EEv15rocblas_storev_iiT0_iilPT_lSA_il
		.amdhsa_group_segment_fixed_size 0
		.amdhsa_private_segment_fixed_size 0
		.amdhsa_kernarg_size 336
		.amdhsa_user_sgpr_count 2
		.amdhsa_user_sgpr_dispatch_ptr 0
		.amdhsa_user_sgpr_queue_ptr 0
		.amdhsa_user_sgpr_kernarg_segment_ptr 1
		.amdhsa_user_sgpr_dispatch_id 0
		.amdhsa_user_sgpr_kernarg_preload_length 0
		.amdhsa_user_sgpr_kernarg_preload_offset 0
		.amdhsa_user_sgpr_private_segment_size 0
		.amdhsa_wavefront_size32 1
		.amdhsa_uses_dynamic_stack 0
		.amdhsa_enable_private_segment 0
		.amdhsa_system_sgpr_workgroup_id_x 1
		.amdhsa_system_sgpr_workgroup_id_y 1
		.amdhsa_system_sgpr_workgroup_id_z 0
		.amdhsa_system_sgpr_workgroup_info 0
		.amdhsa_system_vgpr_workitem_id 0
		.amdhsa_next_free_vgpr 24
		.amdhsa_next_free_sgpr 46
		.amdhsa_named_barrier_count 0
		.amdhsa_reserve_vcc 1
		.amdhsa_float_round_mode_32 0
		.amdhsa_float_round_mode_16_64 0
		.amdhsa_float_denorm_mode_32 3
		.amdhsa_float_denorm_mode_16_64 3
		.amdhsa_fp16_overflow 0
		.amdhsa_memory_ordered 1
		.amdhsa_forward_progress 1
		.amdhsa_inst_pref_size 14
		.amdhsa_round_robin_scheduling 0
		.amdhsa_exception_fp_ieee_invalid_op 0
		.amdhsa_exception_fp_denorm_src 0
		.amdhsa_exception_fp_ieee_div_zero 0
		.amdhsa_exception_fp_ieee_overflow 0
		.amdhsa_exception_fp_ieee_underflow 0
		.amdhsa_exception_fp_ieee_inexact 0
		.amdhsa_exception_int_div_zero 0
	.end_amdhsa_kernel
	.section	.text._ZN9rocsolver6v33100L21larft_kernel_backwardI19rocblas_complex_numIfEPKPS3_EEv15rocblas_storev_iiT0_iilPT_lSA_il,"axG",@progbits,_ZN9rocsolver6v33100L21larft_kernel_backwardI19rocblas_complex_numIfEPKPS3_EEv15rocblas_storev_iiT0_iilPT_lSA_il,comdat
.Lfunc_end58:
	.size	_ZN9rocsolver6v33100L21larft_kernel_backwardI19rocblas_complex_numIfEPKPS3_EEv15rocblas_storev_iiT0_iilPT_lSA_il, .Lfunc_end58-_ZN9rocsolver6v33100L21larft_kernel_backwardI19rocblas_complex_numIfEPKPS3_EEv15rocblas_storev_iiT0_iilPT_lSA_il
                                        ; -- End function
	.set _ZN9rocsolver6v33100L21larft_kernel_backwardI19rocblas_complex_numIfEPKPS3_EEv15rocblas_storev_iiT0_iilPT_lSA_il.num_vgpr, 24
	.set _ZN9rocsolver6v33100L21larft_kernel_backwardI19rocblas_complex_numIfEPKPS3_EEv15rocblas_storev_iiT0_iilPT_lSA_il.num_agpr, 0
	.set _ZN9rocsolver6v33100L21larft_kernel_backwardI19rocblas_complex_numIfEPKPS3_EEv15rocblas_storev_iiT0_iilPT_lSA_il.numbered_sgpr, 46
	.set _ZN9rocsolver6v33100L21larft_kernel_backwardI19rocblas_complex_numIfEPKPS3_EEv15rocblas_storev_iiT0_iilPT_lSA_il.num_named_barrier, 0
	.set _ZN9rocsolver6v33100L21larft_kernel_backwardI19rocblas_complex_numIfEPKPS3_EEv15rocblas_storev_iiT0_iilPT_lSA_il.private_seg_size, 0
	.set _ZN9rocsolver6v33100L21larft_kernel_backwardI19rocblas_complex_numIfEPKPS3_EEv15rocblas_storev_iiT0_iilPT_lSA_il.uses_vcc, 1
	.set _ZN9rocsolver6v33100L21larft_kernel_backwardI19rocblas_complex_numIfEPKPS3_EEv15rocblas_storev_iiT0_iilPT_lSA_il.uses_flat_scratch, 0
	.set _ZN9rocsolver6v33100L21larft_kernel_backwardI19rocblas_complex_numIfEPKPS3_EEv15rocblas_storev_iiT0_iilPT_lSA_il.has_dyn_sized_stack, 0
	.set _ZN9rocsolver6v33100L21larft_kernel_backwardI19rocblas_complex_numIfEPKPS3_EEv15rocblas_storev_iiT0_iilPT_lSA_il.has_recursion, 0
	.set _ZN9rocsolver6v33100L21larft_kernel_backwardI19rocblas_complex_numIfEPKPS3_EEv15rocblas_storev_iiT0_iilPT_lSA_il.has_indirect_call, 0
	.section	.AMDGPU.csdata,"",@progbits
; Kernel info:
; codeLenInByte = 1748
; TotalNumSgprs: 48
; NumVgprs: 24
; ScratchSize: 0
; MemoryBound: 0
; FloatMode: 240
; IeeeMode: 1
; LDSByteSize: 0 bytes/workgroup (compile time only)
; SGPRBlocks: 0
; VGPRBlocks: 1
; NumSGPRsForWavesPerEU: 48
; NumVGPRsForWavesPerEU: 24
; NamedBarCnt: 0
; Occupancy: 16
; WaveLimiterHint : 0
; COMPUTE_PGM_RSRC2:SCRATCH_EN: 0
; COMPUTE_PGM_RSRC2:USER_SGPR: 2
; COMPUTE_PGM_RSRC2:TRAP_HANDLER: 0
; COMPUTE_PGM_RSRC2:TGID_X_EN: 1
; COMPUTE_PGM_RSRC2:TGID_Y_EN: 1
; COMPUTE_PGM_RSRC2:TGID_Z_EN: 0
; COMPUTE_PGM_RSRC2:TIDIG_COMP_CNT: 0
	.section	.text._ZN9rocsolver6v33100L9copymatA1I19rocblas_complex_numIfEPKPS3_EEviiT0_iilPT_,"axG",@progbits,_ZN9rocsolver6v33100L9copymatA1I19rocblas_complex_numIfEPKPS3_EEviiT0_iilPT_,comdat
	.globl	_ZN9rocsolver6v33100L9copymatA1I19rocblas_complex_numIfEPKPS3_EEviiT0_iilPT_ ; -- Begin function _ZN9rocsolver6v33100L9copymatA1I19rocblas_complex_numIfEPKPS3_EEviiT0_iilPT_
	.p2align	8
	.type	_ZN9rocsolver6v33100L9copymatA1I19rocblas_complex_numIfEPKPS3_EEviiT0_iilPT_,@function
_ZN9rocsolver6v33100L9copymatA1I19rocblas_complex_numIfEPKPS3_EEviiT0_iilPT_: ; @_ZN9rocsolver6v33100L9copymatA1I19rocblas_complex_numIfEPKPS3_EEviiT0_iilPT_
; %bb.0:
	s_clause 0x1
	s_load_b32 s2, s[0:1], 0x34
	s_load_b64 s[4:5], s[0:1], 0x0
	s_bfe_u32 s7, ttmp6, 0x40010
	s_bfe_u32 s10, ttmp6, 0x4000c
	s_and_b32 s3, ttmp7, 0xffff
	s_add_co_i32 s7, s7, 1
	s_add_co_i32 s10, s10, 1
	s_bfe_u32 s8, ttmp6, 0x40004
	s_and_b32 s9, ttmp6, 15
	s_mul_i32 s7, s3, s7
	s_mul_i32 s10, ttmp9, s10
	s_getreg_b32 s6, hwreg(HW_REG_IB_STS2, 6, 4)
	v_and_b32_e32 v1, 0x3ff, v0
	v_bfe_u32 v0, v0, 10, 10
	s_add_co_i32 s8, s8, s7
	s_add_co_i32 s9, s9, s10
	s_wait_kmcnt 0x0
	s_lshr_b32 s7, s2, 16
	s_and_b32 s2, s2, 0xffff
	s_cmp_eq_u32 s6, 0
	s_cselect_b32 s3, s3, s8
	s_cselect_b32 s8, ttmp9, s9
	v_mad_u32 v0, s3, s7, v0
	v_mad_u32 v1, s8, s2, v1
	s_mov_b32 s3, 0
	s_delay_alu instid0(VALU_DEP_2) | instskip(NEXT) | instid1(VALU_DEP_2)
	v_cmp_gt_u32_e32 vcc_lo, s4, v0
	v_cmp_gt_u32_e64 s2, s5, v1
	s_and_b32 s2, s2, vcc_lo
	s_delay_alu instid0(SALU_CYCLE_1)
	s_and_saveexec_b32 s7, s2
	s_cbranch_execz .LBB59_2
; %bb.1:
	s_load_b128 s[8:11], s[0:1], 0x8
	s_bfe_u32 s2, ttmp6, 0x40014
	s_lshr_b32 s12, ttmp7, 16
	s_add_co_i32 s2, s2, 1
	s_bfe_u32 s14, ttmp6, 0x40008
	s_mul_i32 s2, s12, s2
	s_ashr_i32 s7, s4, 31
	s_ashr_i32 s13, s5, 31
	s_add_co_i32 s14, s14, s2
	s_cmp_eq_u32 s6, 0
	s_mov_b32 s6, s4
	s_cselect_b32 s2, s12, s14
	s_mov_b32 s12, s5
	s_load_b64 s[14:15], s[0:1], 0x20
	s_wait_kmcnt 0x0
	s_load_b64 s[16:17], s[8:9], s2 offset:0x0 scale_offset
	v_mad_u32 v2, v1, s11, v0
	s_ashr_i32 s1, s10, 31
	s_mov_b32 s0, s10
	v_mad_u32 v0, v1, s4, v0
	s_lshl_b64 s[0:1], s[0:1], 3
	s_wait_kmcnt 0x0
	s_add_nc_u64 s[0:1], s[16:17], s[0:1]
	flat_load_b64 v[2:3], v2, s[0:1] scale_offset
	s_wait_xcnt 0x0
	s_mul_u64 s[0:1], s[6:7], s[2:3]
	s_delay_alu instid0(SALU_CYCLE_1) | instskip(NEXT) | instid1(SALU_CYCLE_1)
	s_mul_u64 s[0:1], s[0:1], s[12:13]
	s_lshl_b64 s[0:1], s[0:1], 3
	s_delay_alu instid0(SALU_CYCLE_1)
	s_add_nc_u64 s[0:1], s[14:15], s[0:1]
	s_wait_loadcnt_dscnt 0x0
	global_store_b64 v0, v[2:3], s[0:1] scale_offset
.LBB59_2:
	s_endpgm
	.section	.rodata,"a",@progbits
	.p2align	6, 0x0
	.amdhsa_kernel _ZN9rocsolver6v33100L9copymatA1I19rocblas_complex_numIfEPKPS3_EEviiT0_iilPT_
		.amdhsa_group_segment_fixed_size 0
		.amdhsa_private_segment_fixed_size 0
		.amdhsa_kernarg_size 296
		.amdhsa_user_sgpr_count 2
		.amdhsa_user_sgpr_dispatch_ptr 0
		.amdhsa_user_sgpr_queue_ptr 0
		.amdhsa_user_sgpr_kernarg_segment_ptr 1
		.amdhsa_user_sgpr_dispatch_id 0
		.amdhsa_user_sgpr_kernarg_preload_length 0
		.amdhsa_user_sgpr_kernarg_preload_offset 0
		.amdhsa_user_sgpr_private_segment_size 0
		.amdhsa_wavefront_size32 1
		.amdhsa_uses_dynamic_stack 0
		.amdhsa_enable_private_segment 0
		.amdhsa_system_sgpr_workgroup_id_x 1
		.amdhsa_system_sgpr_workgroup_id_y 1
		.amdhsa_system_sgpr_workgroup_id_z 1
		.amdhsa_system_sgpr_workgroup_info 0
		.amdhsa_system_vgpr_workitem_id 1
		.amdhsa_next_free_vgpr 4
		.amdhsa_next_free_sgpr 18
		.amdhsa_named_barrier_count 0
		.amdhsa_reserve_vcc 1
		.amdhsa_float_round_mode_32 0
		.amdhsa_float_round_mode_16_64 0
		.amdhsa_float_denorm_mode_32 3
		.amdhsa_float_denorm_mode_16_64 3
		.amdhsa_fp16_overflow 0
		.amdhsa_memory_ordered 1
		.amdhsa_forward_progress 1
		.amdhsa_inst_pref_size 3
		.amdhsa_round_robin_scheduling 0
		.amdhsa_exception_fp_ieee_invalid_op 0
		.amdhsa_exception_fp_denorm_src 0
		.amdhsa_exception_fp_ieee_div_zero 0
		.amdhsa_exception_fp_ieee_overflow 0
		.amdhsa_exception_fp_ieee_underflow 0
		.amdhsa_exception_fp_ieee_inexact 0
		.amdhsa_exception_int_div_zero 0
	.end_amdhsa_kernel
	.section	.text._ZN9rocsolver6v33100L9copymatA1I19rocblas_complex_numIfEPKPS3_EEviiT0_iilPT_,"axG",@progbits,_ZN9rocsolver6v33100L9copymatA1I19rocblas_complex_numIfEPKPS3_EEviiT0_iilPT_,comdat
.Lfunc_end59:
	.size	_ZN9rocsolver6v33100L9copymatA1I19rocblas_complex_numIfEPKPS3_EEviiT0_iilPT_, .Lfunc_end59-_ZN9rocsolver6v33100L9copymatA1I19rocblas_complex_numIfEPKPS3_EEviiT0_iilPT_
                                        ; -- End function
	.set _ZN9rocsolver6v33100L9copymatA1I19rocblas_complex_numIfEPKPS3_EEviiT0_iilPT_.num_vgpr, 4
	.set _ZN9rocsolver6v33100L9copymatA1I19rocblas_complex_numIfEPKPS3_EEviiT0_iilPT_.num_agpr, 0
	.set _ZN9rocsolver6v33100L9copymatA1I19rocblas_complex_numIfEPKPS3_EEviiT0_iilPT_.numbered_sgpr, 18
	.set _ZN9rocsolver6v33100L9copymatA1I19rocblas_complex_numIfEPKPS3_EEviiT0_iilPT_.num_named_barrier, 0
	.set _ZN9rocsolver6v33100L9copymatA1I19rocblas_complex_numIfEPKPS3_EEviiT0_iilPT_.private_seg_size, 0
	.set _ZN9rocsolver6v33100L9copymatA1I19rocblas_complex_numIfEPKPS3_EEviiT0_iilPT_.uses_vcc, 1
	.set _ZN9rocsolver6v33100L9copymatA1I19rocblas_complex_numIfEPKPS3_EEviiT0_iilPT_.uses_flat_scratch, 0
	.set _ZN9rocsolver6v33100L9copymatA1I19rocblas_complex_numIfEPKPS3_EEviiT0_iilPT_.has_dyn_sized_stack, 0
	.set _ZN9rocsolver6v33100L9copymatA1I19rocblas_complex_numIfEPKPS3_EEviiT0_iilPT_.has_recursion, 0
	.set _ZN9rocsolver6v33100L9copymatA1I19rocblas_complex_numIfEPKPS3_EEviiT0_iilPT_.has_indirect_call, 0
	.section	.AMDGPU.csdata,"",@progbits
; Kernel info:
; codeLenInByte = 360
; TotalNumSgprs: 20
; NumVgprs: 4
; ScratchSize: 0
; MemoryBound: 0
; FloatMode: 240
; IeeeMode: 1
; LDSByteSize: 0 bytes/workgroup (compile time only)
; SGPRBlocks: 0
; VGPRBlocks: 0
; NumSGPRsForWavesPerEU: 20
; NumVGPRsForWavesPerEU: 4
; NamedBarCnt: 0
; Occupancy: 16
; WaveLimiterHint : 1
; COMPUTE_PGM_RSRC2:SCRATCH_EN: 0
; COMPUTE_PGM_RSRC2:USER_SGPR: 2
; COMPUTE_PGM_RSRC2:TRAP_HANDLER: 0
; COMPUTE_PGM_RSRC2:TGID_X_EN: 1
; COMPUTE_PGM_RSRC2:TGID_Y_EN: 1
; COMPUTE_PGM_RSRC2:TGID_Z_EN: 1
; COMPUTE_PGM_RSRC2:TIDIG_COMP_CNT: 1
	.section	.text._ZN9rocsolver6v33100L8addmatA1I19rocblas_complex_numIfEPKPS3_EEviiT0_iilPT_,"axG",@progbits,_ZN9rocsolver6v33100L8addmatA1I19rocblas_complex_numIfEPKPS3_EEviiT0_iilPT_,comdat
	.globl	_ZN9rocsolver6v33100L8addmatA1I19rocblas_complex_numIfEPKPS3_EEviiT0_iilPT_ ; -- Begin function _ZN9rocsolver6v33100L8addmatA1I19rocblas_complex_numIfEPKPS3_EEviiT0_iilPT_
	.p2align	8
	.type	_ZN9rocsolver6v33100L8addmatA1I19rocblas_complex_numIfEPKPS3_EEviiT0_iilPT_,@function
_ZN9rocsolver6v33100L8addmatA1I19rocblas_complex_numIfEPKPS3_EEviiT0_iilPT_: ; @_ZN9rocsolver6v33100L8addmatA1I19rocblas_complex_numIfEPKPS3_EEviiT0_iilPT_
; %bb.0:
	s_clause 0x1
	s_load_b32 s2, s[0:1], 0x34
	s_load_b64 s[4:5], s[0:1], 0x0
	s_bfe_u32 s7, ttmp6, 0x40010
	s_bfe_u32 s10, ttmp6, 0x4000c
	s_and_b32 s3, ttmp7, 0xffff
	s_add_co_i32 s7, s7, 1
	s_add_co_i32 s10, s10, 1
	s_bfe_u32 s8, ttmp6, 0x40004
	s_and_b32 s9, ttmp6, 15
	s_mul_i32 s7, s3, s7
	s_mul_i32 s10, ttmp9, s10
	s_getreg_b32 s6, hwreg(HW_REG_IB_STS2, 6, 4)
	v_and_b32_e32 v1, 0x3ff, v0
	v_bfe_u32 v0, v0, 10, 10
	s_add_co_i32 s8, s8, s7
	s_add_co_i32 s9, s9, s10
	s_wait_kmcnt 0x0
	s_lshr_b32 s7, s2, 16
	s_and_b32 s2, s2, 0xffff
	s_cmp_eq_u32 s6, 0
	s_cselect_b32 s3, s3, s8
	s_cselect_b32 s8, ttmp9, s9
	v_mad_u32 v0, s3, s7, v0
	v_mad_u32 v1, s8, s2, v1
	s_mov_b32 s3, 0
	s_delay_alu instid0(VALU_DEP_2) | instskip(NEXT) | instid1(VALU_DEP_2)
	v_cmp_gt_u32_e32 vcc_lo, s4, v0
	v_cmp_gt_u32_e64 s2, s5, v1
	s_and_b32 s2, s2, vcc_lo
	s_delay_alu instid0(SALU_CYCLE_1)
	s_and_saveexec_b32 s7, s2
	s_cbranch_execz .LBB60_2
; %bb.1:
	s_load_b128 s[8:11], s[0:1], 0x8
	s_bfe_u32 s2, ttmp6, 0x40014
	s_lshr_b32 s12, ttmp7, 16
	s_add_co_i32 s2, s2, 1
	s_bfe_u32 s14, ttmp6, 0x40008
	s_mul_i32 s2, s12, s2
	s_ashr_i32 s7, s4, 31
	s_ashr_i32 s13, s5, 31
	s_add_co_i32 s14, s14, s2
	s_cmp_eq_u32 s6, 0
	v_mad_u32 v4, v1, s4, v0
	s_cselect_b32 s2, s12, s14
	s_mov_b32 s6, s4
	s_mov_b32 s12, s5
	s_load_b64 s[14:15], s[0:1], 0x20
	s_wait_kmcnt 0x0
	s_load_b64 s[16:17], s[8:9], s2 offset:0x0 scale_offset
	v_mad_u32 v5, v1, s11, v0
	s_mul_u64 s[0:1], s[6:7], s[2:3]
	s_ashr_i32 s3, s10, 31
	s_mul_u64 s[0:1], s[0:1], s[12:13]
	s_wait_xcnt 0x0
	s_mov_b32 s2, s10
	s_lshl_b64 s[0:1], s[0:1], 3
	s_lshl_b64 s[2:3], s[2:3], 3
	s_add_nc_u64 s[0:1], s[14:15], s[0:1]
	s_wait_kmcnt 0x0
	s_add_nc_u64 s[2:3], s[16:17], s[2:3]
	global_load_b64 v[0:1], v4, s[0:1] scale_offset
	flat_load_b64 v[2:3], v5, s[2:3] scale_offset
	s_wait_loadcnt_dscnt 0x0
	v_pk_add_f32 v[0:1], v[2:3], v[0:1] neg_lo:[0,1] neg_hi:[0,1]
	flat_store_b64 v5, v[0:1], s[2:3] scale_offset
.LBB60_2:
	s_endpgm
	.section	.rodata,"a",@progbits
	.p2align	6, 0x0
	.amdhsa_kernel _ZN9rocsolver6v33100L8addmatA1I19rocblas_complex_numIfEPKPS3_EEviiT0_iilPT_
		.amdhsa_group_segment_fixed_size 0
		.amdhsa_private_segment_fixed_size 0
		.amdhsa_kernarg_size 296
		.amdhsa_user_sgpr_count 2
		.amdhsa_user_sgpr_dispatch_ptr 0
		.amdhsa_user_sgpr_queue_ptr 0
		.amdhsa_user_sgpr_kernarg_segment_ptr 1
		.amdhsa_user_sgpr_dispatch_id 0
		.amdhsa_user_sgpr_kernarg_preload_length 0
		.amdhsa_user_sgpr_kernarg_preload_offset 0
		.amdhsa_user_sgpr_private_segment_size 0
		.amdhsa_wavefront_size32 1
		.amdhsa_uses_dynamic_stack 0
		.amdhsa_enable_private_segment 0
		.amdhsa_system_sgpr_workgroup_id_x 1
		.amdhsa_system_sgpr_workgroup_id_y 1
		.amdhsa_system_sgpr_workgroup_id_z 1
		.amdhsa_system_sgpr_workgroup_info 0
		.amdhsa_system_vgpr_workitem_id 1
		.amdhsa_next_free_vgpr 6
		.amdhsa_next_free_sgpr 18
		.amdhsa_named_barrier_count 0
		.amdhsa_reserve_vcc 1
		.amdhsa_float_round_mode_32 0
		.amdhsa_float_round_mode_16_64 0
		.amdhsa_float_denorm_mode_32 3
		.amdhsa_float_denorm_mode_16_64 3
		.amdhsa_fp16_overflow 0
		.amdhsa_memory_ordered 1
		.amdhsa_forward_progress 1
		.amdhsa_inst_pref_size 3
		.amdhsa_round_robin_scheduling 0
		.amdhsa_exception_fp_ieee_invalid_op 0
		.amdhsa_exception_fp_denorm_src 0
		.amdhsa_exception_fp_ieee_div_zero 0
		.amdhsa_exception_fp_ieee_overflow 0
		.amdhsa_exception_fp_ieee_underflow 0
		.amdhsa_exception_fp_ieee_inexact 0
		.amdhsa_exception_int_div_zero 0
	.end_amdhsa_kernel
	.section	.text._ZN9rocsolver6v33100L8addmatA1I19rocblas_complex_numIfEPKPS3_EEviiT0_iilPT_,"axG",@progbits,_ZN9rocsolver6v33100L8addmatA1I19rocblas_complex_numIfEPKPS3_EEviiT0_iilPT_,comdat
.Lfunc_end60:
	.size	_ZN9rocsolver6v33100L8addmatA1I19rocblas_complex_numIfEPKPS3_EEviiT0_iilPT_, .Lfunc_end60-_ZN9rocsolver6v33100L8addmatA1I19rocblas_complex_numIfEPKPS3_EEviiT0_iilPT_
                                        ; -- End function
	.set _ZN9rocsolver6v33100L8addmatA1I19rocblas_complex_numIfEPKPS3_EEviiT0_iilPT_.num_vgpr, 6
	.set _ZN9rocsolver6v33100L8addmatA1I19rocblas_complex_numIfEPKPS3_EEviiT0_iilPT_.num_agpr, 0
	.set _ZN9rocsolver6v33100L8addmatA1I19rocblas_complex_numIfEPKPS3_EEviiT0_iilPT_.numbered_sgpr, 18
	.set _ZN9rocsolver6v33100L8addmatA1I19rocblas_complex_numIfEPKPS3_EEviiT0_iilPT_.num_named_barrier, 0
	.set _ZN9rocsolver6v33100L8addmatA1I19rocblas_complex_numIfEPKPS3_EEviiT0_iilPT_.private_seg_size, 0
	.set _ZN9rocsolver6v33100L8addmatA1I19rocblas_complex_numIfEPKPS3_EEviiT0_iilPT_.uses_vcc, 1
	.set _ZN9rocsolver6v33100L8addmatA1I19rocblas_complex_numIfEPKPS3_EEviiT0_iilPT_.uses_flat_scratch, 0
	.set _ZN9rocsolver6v33100L8addmatA1I19rocblas_complex_numIfEPKPS3_EEviiT0_iilPT_.has_dyn_sized_stack, 0
	.set _ZN9rocsolver6v33100L8addmatA1I19rocblas_complex_numIfEPKPS3_EEviiT0_iilPT_.has_recursion, 0
	.set _ZN9rocsolver6v33100L8addmatA1I19rocblas_complex_numIfEPKPS3_EEviiT0_iilPT_.has_indirect_call, 0
	.section	.AMDGPU.csdata,"",@progbits
; Kernel info:
; codeLenInByte = 372
; TotalNumSgprs: 20
; NumVgprs: 6
; ScratchSize: 0
; MemoryBound: 0
; FloatMode: 240
; IeeeMode: 1
; LDSByteSize: 0 bytes/workgroup (compile time only)
; SGPRBlocks: 0
; VGPRBlocks: 0
; NumSGPRsForWavesPerEU: 20
; NumVGPRsForWavesPerEU: 6
; NamedBarCnt: 0
; Occupancy: 16
; WaveLimiterHint : 1
; COMPUTE_PGM_RSRC2:SCRATCH_EN: 0
; COMPUTE_PGM_RSRC2:USER_SGPR: 2
; COMPUTE_PGM_RSRC2:TRAP_HANDLER: 0
; COMPUTE_PGM_RSRC2:TGID_X_EN: 1
; COMPUTE_PGM_RSRC2:TGID_Y_EN: 1
; COMPUTE_PGM_RSRC2:TGID_Z_EN: 1
; COMPUTE_PGM_RSRC2:TIDIG_COMP_CNT: 1
	.section	.text._ZN9rocsolver6v33100L8set_diagI19rocblas_complex_numIfEiS3_PKPS3_TnNSt9enable_ifIXoont18rocblas_is_complexIT_E18rocblas_is_complexIT1_EEiE4typeELi0EEEvPS9_llT2_lT0_lSE_b,"axG",@progbits,_ZN9rocsolver6v33100L8set_diagI19rocblas_complex_numIfEiS3_PKPS3_TnNSt9enable_ifIXoont18rocblas_is_complexIT_E18rocblas_is_complexIT1_EEiE4typeELi0EEEvPS9_llT2_lT0_lSE_b,comdat
	.globl	_ZN9rocsolver6v33100L8set_diagI19rocblas_complex_numIfEiS3_PKPS3_TnNSt9enable_ifIXoont18rocblas_is_complexIT_E18rocblas_is_complexIT1_EEiE4typeELi0EEEvPS9_llT2_lT0_lSE_b ; -- Begin function _ZN9rocsolver6v33100L8set_diagI19rocblas_complex_numIfEiS3_PKPS3_TnNSt9enable_ifIXoont18rocblas_is_complexIT_E18rocblas_is_complexIT1_EEiE4typeELi0EEEvPS9_llT2_lT0_lSE_b
	.p2align	8
	.type	_ZN9rocsolver6v33100L8set_diagI19rocblas_complex_numIfEiS3_PKPS3_TnNSt9enable_ifIXoont18rocblas_is_complexIT_E18rocblas_is_complexIT1_EEiE4typeELi0EEEvPS9_llT2_lT0_lSE_b,@function
_ZN9rocsolver6v33100L8set_diagI19rocblas_complex_numIfEiS3_PKPS3_TnNSt9enable_ifIXoont18rocblas_is_complexIT_E18rocblas_is_complexIT1_EEiE4typeELi0EEEvPS9_llT2_lT0_lSE_b: ; @_ZN9rocsolver6v33100L8set_diagI19rocblas_complex_numIfEiS3_PKPS3_TnNSt9enable_ifIXoont18rocblas_is_complexIT_E18rocblas_is_complexIT1_EEiE4typeELi0EEEvPS9_llT2_lT0_lSE_b
; %bb.0:
	s_load_u16 s4, s[0:1], 0x4e
	s_bfe_u32 s2, ttmp6, 0x40010
	s_bfe_u32 s6, ttmp6, 0x40004
	s_add_co_i32 s5, s2, 1
	s_load_b64 s[2:3], s[0:1], 0x38
	s_mul_i32 s5, ttmp7, s5
	s_getreg_b32 s12, hwreg(HW_REG_IB_STS2, 6, 4)
	s_add_co_i32 s6, s6, s5
	v_bfe_u32 v0, v0, 10, 10
	s_cmp_eq_u32 s12, 0
	s_cselect_b32 s5, ttmp7, s6
	s_wait_kmcnt 0x0
	s_delay_alu instid0(VALU_DEP_1) | instskip(NEXT) | instid1(VALU_DEP_1)
	v_mad_u32 v2, s5, s4, v0
	v_cmp_gt_i32_e32 vcc_lo, s2, v2
	s_and_saveexec_b32 s2, vcc_lo
	s_cbranch_execz .LBB61_5
; %bb.1:
	s_load_b256 s[4:11], s[0:1], 0x0
	s_bitcmp1_b32 s3, 0
	s_cselect_b32 s16, -1, 0
	s_bfe_u32 s2, ttmp6, 0x4000c
	s_and_b32 s3, ttmp6, 15
	s_add_co_i32 s2, s2, 1
	s_delay_alu instid0(SALU_CYCLE_1) | instskip(NEXT) | instid1(SALU_CYCLE_1)
	s_mul_i32 s2, ttmp9, s2
	s_add_co_i32 s3, s3, s2
	s_cmp_eq_u32 s12, 0
	s_wait_xcnt 0x0
	s_load_b96 s[0:2], s[0:1], 0x20
	s_cselect_b32 s12, ttmp9, s3
	s_and_b32 vcc_lo, exec_lo, s16
	s_ashr_i32 s13, s12, 31
	s_delay_alu instid0(SALU_CYCLE_1)
	s_lshl_b64 s[14:15], s[12:13], 3
	s_wait_kmcnt 0x0
	s_add_nc_u64 s[10:11], s[10:11], s[14:15]
	s_lshl_b64 s[6:7], s[6:7], 3
	s_load_b64 s[10:11], s[10:11], 0x0
	v_mad_u32 v0, v2, s2, v2
	s_lshl_b64 s[0:1], s[0:1], 3
	s_mul_u64 s[2:3], s[8:9], s[12:13]
	s_delay_alu instid0(SALU_CYCLE_1) | instskip(NEXT) | instid1(SALU_CYCLE_1)
	s_lshl_b64 s[2:3], s[2:3], 3
	s_add_nc_u64 s[2:3], s[4:5], s[2:3]
	s_delay_alu instid0(SALU_CYCLE_1) | instskip(SKIP_2) | instid1(VALU_DEP_1)
	s_add_nc_u64 s[2:3], s[2:3], s[6:7]
	s_wait_kmcnt 0x0
	s_add_nc_u64 s[0:1], s[10:11], s[0:1]
	v_ashrrev_i32_e32 v1, 31, v0
	flat_load_b64 v[4:5], v0, s[0:1] scale_offset
	s_wait_xcnt 0x0
	v_lshl_add_u64 v[0:1], v[0:1], 3, s[0:1]
	s_wait_loadcnt_dscnt 0x0
	global_store_b64 v2, v[4:5], s[2:3] scale_offset
	s_cbranch_vccnz .LBB61_3
; %bb.2:
	flat_load_b64 v[2:3], v[0:1]
	s_branch .LBB61_4
.LBB61_3:
	s_wait_xcnt 0x0
	v_dual_mov_b32 v3, 0 :: v_dual_mov_b32 v2, 1.0
.LBB61_4:
	s_wait_loadcnt_dscnt 0x0
	flat_store_b64 v[0:1], v[2:3]
.LBB61_5:
	s_endpgm
	.section	.rodata,"a",@progbits
	.p2align	6, 0x0
	.amdhsa_kernel _ZN9rocsolver6v33100L8set_diagI19rocblas_complex_numIfEiS3_PKPS3_TnNSt9enable_ifIXoont18rocblas_is_complexIT_E18rocblas_is_complexIT1_EEiE4typeELi0EEEvPS9_llT2_lT0_lSE_b
		.amdhsa_group_segment_fixed_size 0
		.amdhsa_private_segment_fixed_size 0
		.amdhsa_kernarg_size 320
		.amdhsa_user_sgpr_count 2
		.amdhsa_user_sgpr_dispatch_ptr 0
		.amdhsa_user_sgpr_queue_ptr 0
		.amdhsa_user_sgpr_kernarg_segment_ptr 1
		.amdhsa_user_sgpr_dispatch_id 0
		.amdhsa_user_sgpr_kernarg_preload_length 0
		.amdhsa_user_sgpr_kernarg_preload_offset 0
		.amdhsa_user_sgpr_private_segment_size 0
		.amdhsa_wavefront_size32 1
		.amdhsa_uses_dynamic_stack 0
		.amdhsa_enable_private_segment 0
		.amdhsa_system_sgpr_workgroup_id_x 1
		.amdhsa_system_sgpr_workgroup_id_y 1
		.amdhsa_system_sgpr_workgroup_id_z 0
		.amdhsa_system_sgpr_workgroup_info 0
		.amdhsa_system_vgpr_workitem_id 1
		.amdhsa_next_free_vgpr 6
		.amdhsa_next_free_sgpr 17
		.amdhsa_named_barrier_count 0
		.amdhsa_reserve_vcc 1
		.amdhsa_float_round_mode_32 0
		.amdhsa_float_round_mode_16_64 0
		.amdhsa_float_denorm_mode_32 3
		.amdhsa_float_denorm_mode_16_64 3
		.amdhsa_fp16_overflow 0
		.amdhsa_memory_ordered 1
		.amdhsa_forward_progress 1
		.amdhsa_inst_pref_size 3
		.amdhsa_round_robin_scheduling 0
		.amdhsa_exception_fp_ieee_invalid_op 0
		.amdhsa_exception_fp_denorm_src 0
		.amdhsa_exception_fp_ieee_div_zero 0
		.amdhsa_exception_fp_ieee_overflow 0
		.amdhsa_exception_fp_ieee_underflow 0
		.amdhsa_exception_fp_ieee_inexact 0
		.amdhsa_exception_int_div_zero 0
	.end_amdhsa_kernel
	.section	.text._ZN9rocsolver6v33100L8set_diagI19rocblas_complex_numIfEiS3_PKPS3_TnNSt9enable_ifIXoont18rocblas_is_complexIT_E18rocblas_is_complexIT1_EEiE4typeELi0EEEvPS9_llT2_lT0_lSE_b,"axG",@progbits,_ZN9rocsolver6v33100L8set_diagI19rocblas_complex_numIfEiS3_PKPS3_TnNSt9enable_ifIXoont18rocblas_is_complexIT_E18rocblas_is_complexIT1_EEiE4typeELi0EEEvPS9_llT2_lT0_lSE_b,comdat
.Lfunc_end61:
	.size	_ZN9rocsolver6v33100L8set_diagI19rocblas_complex_numIfEiS3_PKPS3_TnNSt9enable_ifIXoont18rocblas_is_complexIT_E18rocblas_is_complexIT1_EEiE4typeELi0EEEvPS9_llT2_lT0_lSE_b, .Lfunc_end61-_ZN9rocsolver6v33100L8set_diagI19rocblas_complex_numIfEiS3_PKPS3_TnNSt9enable_ifIXoont18rocblas_is_complexIT_E18rocblas_is_complexIT1_EEiE4typeELi0EEEvPS9_llT2_lT0_lSE_b
                                        ; -- End function
	.set _ZN9rocsolver6v33100L8set_diagI19rocblas_complex_numIfEiS3_PKPS3_TnNSt9enable_ifIXoont18rocblas_is_complexIT_E18rocblas_is_complexIT1_EEiE4typeELi0EEEvPS9_llT2_lT0_lSE_b.num_vgpr, 6
	.set _ZN9rocsolver6v33100L8set_diagI19rocblas_complex_numIfEiS3_PKPS3_TnNSt9enable_ifIXoont18rocblas_is_complexIT_E18rocblas_is_complexIT1_EEiE4typeELi0EEEvPS9_llT2_lT0_lSE_b.num_agpr, 0
	.set _ZN9rocsolver6v33100L8set_diagI19rocblas_complex_numIfEiS3_PKPS3_TnNSt9enable_ifIXoont18rocblas_is_complexIT_E18rocblas_is_complexIT1_EEiE4typeELi0EEEvPS9_llT2_lT0_lSE_b.numbered_sgpr, 17
	.set _ZN9rocsolver6v33100L8set_diagI19rocblas_complex_numIfEiS3_PKPS3_TnNSt9enable_ifIXoont18rocblas_is_complexIT_E18rocblas_is_complexIT1_EEiE4typeELi0EEEvPS9_llT2_lT0_lSE_b.num_named_barrier, 0
	.set _ZN9rocsolver6v33100L8set_diagI19rocblas_complex_numIfEiS3_PKPS3_TnNSt9enable_ifIXoont18rocblas_is_complexIT_E18rocblas_is_complexIT1_EEiE4typeELi0EEEvPS9_llT2_lT0_lSE_b.private_seg_size, 0
	.set _ZN9rocsolver6v33100L8set_diagI19rocblas_complex_numIfEiS3_PKPS3_TnNSt9enable_ifIXoont18rocblas_is_complexIT_E18rocblas_is_complexIT1_EEiE4typeELi0EEEvPS9_llT2_lT0_lSE_b.uses_vcc, 1
	.set _ZN9rocsolver6v33100L8set_diagI19rocblas_complex_numIfEiS3_PKPS3_TnNSt9enable_ifIXoont18rocblas_is_complexIT_E18rocblas_is_complexIT1_EEiE4typeELi0EEEvPS9_llT2_lT0_lSE_b.uses_flat_scratch, 0
	.set _ZN9rocsolver6v33100L8set_diagI19rocblas_complex_numIfEiS3_PKPS3_TnNSt9enable_ifIXoont18rocblas_is_complexIT_E18rocblas_is_complexIT1_EEiE4typeELi0EEEvPS9_llT2_lT0_lSE_b.has_dyn_sized_stack, 0
	.set _ZN9rocsolver6v33100L8set_diagI19rocblas_complex_numIfEiS3_PKPS3_TnNSt9enable_ifIXoont18rocblas_is_complexIT_E18rocblas_is_complexIT1_EEiE4typeELi0EEEvPS9_llT2_lT0_lSE_b.has_recursion, 0
	.set _ZN9rocsolver6v33100L8set_diagI19rocblas_complex_numIfEiS3_PKPS3_TnNSt9enable_ifIXoont18rocblas_is_complexIT_E18rocblas_is_complexIT1_EEiE4typeELi0EEEvPS9_llT2_lT0_lSE_b.has_indirect_call, 0
	.section	.AMDGPU.csdata,"",@progbits
; Kernel info:
; codeLenInByte = 332
; TotalNumSgprs: 19
; NumVgprs: 6
; ScratchSize: 0
; MemoryBound: 0
; FloatMode: 240
; IeeeMode: 1
; LDSByteSize: 0 bytes/workgroup (compile time only)
; SGPRBlocks: 0
; VGPRBlocks: 0
; NumSGPRsForWavesPerEU: 19
; NumVGPRsForWavesPerEU: 6
; NamedBarCnt: 0
; Occupancy: 16
; WaveLimiterHint : 1
; COMPUTE_PGM_RSRC2:SCRATCH_EN: 0
; COMPUTE_PGM_RSRC2:USER_SGPR: 2
; COMPUTE_PGM_RSRC2:TRAP_HANDLER: 0
; COMPUTE_PGM_RSRC2:TGID_X_EN: 1
; COMPUTE_PGM_RSRC2:TGID_Y_EN: 1
; COMPUTE_PGM_RSRC2:TGID_Z_EN: 0
; COMPUTE_PGM_RSRC2:TIDIG_COMP_CNT: 1
	.section	.text._ZN9rocsolver6v33100L12restore_diagI19rocblas_complex_numIfEiS3_PKPS3_EEvPT1_llT2_lT0_lSA_,"axG",@progbits,_ZN9rocsolver6v33100L12restore_diagI19rocblas_complex_numIfEiS3_PKPS3_EEvPT1_llT2_lT0_lSA_,comdat
	.globl	_ZN9rocsolver6v33100L12restore_diagI19rocblas_complex_numIfEiS3_PKPS3_EEvPT1_llT2_lT0_lSA_ ; -- Begin function _ZN9rocsolver6v33100L12restore_diagI19rocblas_complex_numIfEiS3_PKPS3_EEvPT1_llT2_lT0_lSA_
	.p2align	8
	.type	_ZN9rocsolver6v33100L12restore_diagI19rocblas_complex_numIfEiS3_PKPS3_EEvPT1_llT2_lT0_lSA_,@function
_ZN9rocsolver6v33100L12restore_diagI19rocblas_complex_numIfEiS3_PKPS3_EEvPT1_llT2_lT0_lSA_: ; @_ZN9rocsolver6v33100L12restore_diagI19rocblas_complex_numIfEiS3_PKPS3_EEvPT1_llT2_lT0_lSA_
; %bb.0:
	s_clause 0x1
	s_load_u16 s3, s[0:1], 0x4e
	s_load_b32 s4, s[0:1], 0x38
	s_bfe_u32 s2, ttmp6, 0x40010
	s_bfe_u32 s5, ttmp6, 0x40004
	s_add_co_i32 s2, s2, 1
	v_bfe_u32 v0, v0, 10, 10
	s_mul_i32 s2, ttmp7, s2
	s_delay_alu instid0(SALU_CYCLE_1) | instskip(SKIP_1) | instid1(SALU_CYCLE_1)
	s_add_co_i32 s5, s5, s2
	s_getreg_b32 s2, hwreg(HW_REG_IB_STS2, 6, 4)
	s_cmp_eq_u32 s2, 0
	s_cselect_b32 s5, ttmp7, s5
	s_wait_kmcnt 0x0
	v_mad_u32 v0, s5, s3, v0
	s_mov_b32 s3, exec_lo
	s_delay_alu instid0(VALU_DEP_1)
	v_cmpx_gt_i32_e64 s4, v0
	s_cbranch_execz .LBB62_2
; %bb.1:
	s_load_b256 s[4:11], s[0:1], 0x0
	s_bfe_u32 s3, ttmp6, 0x4000c
	s_and_b32 s12, ttmp6, 15
	s_add_co_i32 s3, s3, 1
	s_delay_alu instid0(SALU_CYCLE_1) | instskip(NEXT) | instid1(SALU_CYCLE_1)
	s_mul_i32 s3, ttmp9, s3
	s_add_co_i32 s12, s12, s3
	s_cmp_eq_u32 s2, 0
	s_cselect_b32 s12, ttmp9, s12
	s_delay_alu instid0(SALU_CYCLE_1) | instskip(SKIP_2) | instid1(SALU_CYCLE_1)
	s_ashr_i32 s13, s12, 31
	s_wait_kmcnt 0x0
	s_mul_u64 s[2:3], s[8:9], s[12:13]
	s_lshl_b64 s[2:3], s[2:3], 3
	s_delay_alu instid0(SALU_CYCLE_1) | instskip(SKIP_1) | instid1(SALU_CYCLE_1)
	s_add_nc_u64 s[2:3], s[4:5], s[2:3]
	s_lshl_b64 s[4:5], s[6:7], 3
	s_add_nc_u64 s[2:3], s[2:3], s[4:5]
	s_lshl_b64 s[4:5], s[12:13], 3
	global_load_b64 v[2:3], v0, s[2:3] scale_offset
	s_wait_xcnt 0x0
	s_load_b96 s[0:2], s[0:1], 0x20
	s_add_nc_u64 s[4:5], s[10:11], s[4:5]
	s_load_b64 s[4:5], s[4:5], 0x0
	s_wait_kmcnt 0x0
	v_mad_u32 v0, v0, s2, v0
	s_lshl_b64 s[0:1], s[0:1], 3
	s_delay_alu instid0(SALU_CYCLE_1)
	s_add_nc_u64 s[0:1], s[4:5], s[0:1]
	s_wait_loadcnt 0x0
	flat_store_b64 v0, v[2:3], s[0:1] scale_offset
.LBB62_2:
	s_endpgm
	.section	.rodata,"a",@progbits
	.p2align	6, 0x0
	.amdhsa_kernel _ZN9rocsolver6v33100L12restore_diagI19rocblas_complex_numIfEiS3_PKPS3_EEvPT1_llT2_lT0_lSA_
		.amdhsa_group_segment_fixed_size 0
		.amdhsa_private_segment_fixed_size 0
		.amdhsa_kernarg_size 320
		.amdhsa_user_sgpr_count 2
		.amdhsa_user_sgpr_dispatch_ptr 0
		.amdhsa_user_sgpr_queue_ptr 0
		.amdhsa_user_sgpr_kernarg_segment_ptr 1
		.amdhsa_user_sgpr_dispatch_id 0
		.amdhsa_user_sgpr_kernarg_preload_length 0
		.amdhsa_user_sgpr_kernarg_preload_offset 0
		.amdhsa_user_sgpr_private_segment_size 0
		.amdhsa_wavefront_size32 1
		.amdhsa_uses_dynamic_stack 0
		.amdhsa_enable_private_segment 0
		.amdhsa_system_sgpr_workgroup_id_x 1
		.amdhsa_system_sgpr_workgroup_id_y 1
		.amdhsa_system_sgpr_workgroup_id_z 0
		.amdhsa_system_sgpr_workgroup_info 0
		.amdhsa_system_vgpr_workitem_id 1
		.amdhsa_next_free_vgpr 4
		.amdhsa_next_free_sgpr 14
		.amdhsa_named_barrier_count 0
		.amdhsa_reserve_vcc 0
		.amdhsa_float_round_mode_32 0
		.amdhsa_float_round_mode_16_64 0
		.amdhsa_float_denorm_mode_32 3
		.amdhsa_float_denorm_mode_16_64 3
		.amdhsa_fp16_overflow 0
		.amdhsa_memory_ordered 1
		.amdhsa_forward_progress 1
		.amdhsa_inst_pref_size 3
		.amdhsa_round_robin_scheduling 0
		.amdhsa_exception_fp_ieee_invalid_op 0
		.amdhsa_exception_fp_denorm_src 0
		.amdhsa_exception_fp_ieee_div_zero 0
		.amdhsa_exception_fp_ieee_overflow 0
		.amdhsa_exception_fp_ieee_underflow 0
		.amdhsa_exception_fp_ieee_inexact 0
		.amdhsa_exception_int_div_zero 0
	.end_amdhsa_kernel
	.section	.text._ZN9rocsolver6v33100L12restore_diagI19rocblas_complex_numIfEiS3_PKPS3_EEvPT1_llT2_lT0_lSA_,"axG",@progbits,_ZN9rocsolver6v33100L12restore_diagI19rocblas_complex_numIfEiS3_PKPS3_EEvPT1_llT2_lT0_lSA_,comdat
.Lfunc_end62:
	.size	_ZN9rocsolver6v33100L12restore_diagI19rocblas_complex_numIfEiS3_PKPS3_EEvPT1_llT2_lT0_lSA_, .Lfunc_end62-_ZN9rocsolver6v33100L12restore_diagI19rocblas_complex_numIfEiS3_PKPS3_EEvPT1_llT2_lT0_lSA_
                                        ; -- End function
	.set _ZN9rocsolver6v33100L12restore_diagI19rocblas_complex_numIfEiS3_PKPS3_EEvPT1_llT2_lT0_lSA_.num_vgpr, 4
	.set _ZN9rocsolver6v33100L12restore_diagI19rocblas_complex_numIfEiS3_PKPS3_EEvPT1_llT2_lT0_lSA_.num_agpr, 0
	.set _ZN9rocsolver6v33100L12restore_diagI19rocblas_complex_numIfEiS3_PKPS3_EEvPT1_llT2_lT0_lSA_.numbered_sgpr, 14
	.set _ZN9rocsolver6v33100L12restore_diagI19rocblas_complex_numIfEiS3_PKPS3_EEvPT1_llT2_lT0_lSA_.num_named_barrier, 0
	.set _ZN9rocsolver6v33100L12restore_diagI19rocblas_complex_numIfEiS3_PKPS3_EEvPT1_llT2_lT0_lSA_.private_seg_size, 0
	.set _ZN9rocsolver6v33100L12restore_diagI19rocblas_complex_numIfEiS3_PKPS3_EEvPT1_llT2_lT0_lSA_.uses_vcc, 0
	.set _ZN9rocsolver6v33100L12restore_diagI19rocblas_complex_numIfEiS3_PKPS3_EEvPT1_llT2_lT0_lSA_.uses_flat_scratch, 0
	.set _ZN9rocsolver6v33100L12restore_diagI19rocblas_complex_numIfEiS3_PKPS3_EEvPT1_llT2_lT0_lSA_.has_dyn_sized_stack, 0
	.set _ZN9rocsolver6v33100L12restore_diagI19rocblas_complex_numIfEiS3_PKPS3_EEvPT1_llT2_lT0_lSA_.has_recursion, 0
	.set _ZN9rocsolver6v33100L12restore_diagI19rocblas_complex_numIfEiS3_PKPS3_EEvPT1_llT2_lT0_lSA_.has_indirect_call, 0
	.section	.AMDGPU.csdata,"",@progbits
; Kernel info:
; codeLenInByte = 268
; TotalNumSgprs: 14
; NumVgprs: 4
; ScratchSize: 0
; MemoryBound: 0
; FloatMode: 240
; IeeeMode: 1
; LDSByteSize: 0 bytes/workgroup (compile time only)
; SGPRBlocks: 0
; VGPRBlocks: 0
; NumSGPRsForWavesPerEU: 14
; NumVGPRsForWavesPerEU: 4
; NamedBarCnt: 0
; Occupancy: 16
; WaveLimiterHint : 1
; COMPUTE_PGM_RSRC2:SCRATCH_EN: 0
; COMPUTE_PGM_RSRC2:USER_SGPR: 2
; COMPUTE_PGM_RSRC2:TRAP_HANDLER: 0
; COMPUTE_PGM_RSRC2:TGID_X_EN: 1
; COMPUTE_PGM_RSRC2:TGID_Y_EN: 1
; COMPUTE_PGM_RSRC2:TGID_Z_EN: 0
; COMPUTE_PGM_RSRC2:TIDIG_COMP_CNT: 1
	.section	.text._ZN9rocsolver6v33100L17check_singularityI19rocblas_complex_numIfEPKPS3_EEviT0_iilPi,"axG",@progbits,_ZN9rocsolver6v33100L17check_singularityI19rocblas_complex_numIfEPKPS3_EEviT0_iilPi,comdat
	.globl	_ZN9rocsolver6v33100L17check_singularityI19rocblas_complex_numIfEPKPS3_EEviT0_iilPi ; -- Begin function _ZN9rocsolver6v33100L17check_singularityI19rocblas_complex_numIfEPKPS3_EEviT0_iilPi
	.p2align	8
	.type	_ZN9rocsolver6v33100L17check_singularityI19rocblas_complex_numIfEPKPS3_EEviT0_iilPi,@function
_ZN9rocsolver6v33100L17check_singularityI19rocblas_complex_numIfEPKPS3_EEviT0_iilPi: ; @_ZN9rocsolver6v33100L17check_singularityI19rocblas_complex_numIfEPKPS3_EEviT0_iilPi
; %bb.0:
	s_bfe_u32 s2, ttmp6, 0x4000c
	v_bfe_u32 v0, v0, 10, 10
	s_add_co_i32 s2, s2, 1
	s_and_b32 s3, ttmp6, 15
	s_mul_i32 s2, ttmp9, s2
	s_getreg_b32 s4, hwreg(HW_REG_IB_STS2, 6, 4)
	s_add_co_i32 s3, s3, s2
	s_cmp_eq_u32 s4, 0
	v_cmp_eq_u32_e32 vcc_lo, 0, v0
	s_cselect_b32 s4, ttmp9, s3
	s_delay_alu instid0(SALU_CYCLE_1)
	s_ashr_i32 s5, s4, 31
	s_and_saveexec_b32 s2, vcc_lo
; %bb.1:
	v_mov_b32_e32 v1, 0
	ds_store_b32 v1, v1
; %bb.2:
	s_or_b32 exec_lo, exec_lo, s2
	s_load_b32 s8, s[0:1], 0x0
	s_mov_b32 s9, exec_lo
	s_wait_dscnt 0x0
	s_barrier_signal -1
	s_barrier_wait -1
	s_wait_kmcnt 0x0
	v_cmpx_gt_i32_e64 s8, v0
	s_cbranch_execz .LBB63_9
; %bb.3:
	s_clause 0x1
	s_load_b128 s[12:15], s[0:1], 0x8
	s_load_u16 s10, s[0:1], 0x36
	s_lshl_b64 s[2:3], s[4:5], 3
	v_mov_b32_e32 v1, 0
	s_wait_kmcnt 0x0
	s_add_nc_u64 s[2:3], s[12:13], s[2:3]
	s_ashr_i32 s7, s14, 31
	s_load_b64 s[2:3], s[2:3], 0x0
	s_mov_b32 s6, s14
	s_add_co_i32 s11, s15, 1
	s_lshl_b64 s[6:7], s[6:7], 3
	s_mov_b32 s12, 0
	s_wait_kmcnt 0x0
	s_add_nc_u64 s[6:7], s[2:3], s[6:7]
	s_branch .LBB63_5
.LBB63_4:                               ;   in Loop: Header=BB63_5 Depth=1
	s_or_b32 exec_lo, exec_lo, s13
	v_add_nc_u32_e32 v0, s10, v0
	s_delay_alu instid0(VALU_DEP_1) | instskip(SKIP_1) | instid1(SALU_CYCLE_1)
	v_cmp_le_i32_e64 s2, s8, v0
	s_or_b32 s12, s2, s12
	s_and_not1_b32 exec_lo, exec_lo, s12
	s_cbranch_execz .LBB63_9
.LBB63_5:                               ; =>This Loop Header: Depth=1
                                        ;     Child Loop BB63_8 Depth 2
	v_mul_lo_u32 v2, v0, s11
	flat_load_b64 v[2:3], v2, s[6:7] scale_offset
	s_wait_loadcnt_dscnt 0x0
	v_cmp_eq_f32_e64 s2, 0, v2
	v_cmp_eq_f32_e64 s3, 0, v3
	s_and_b32 s2, s2, s3
	s_delay_alu instid0(SALU_CYCLE_1)
	s_and_saveexec_b32 s13, s2
	s_cbranch_execz .LBB63_4
; %bb.6:                                ;   in Loop: Header=BB63_5 Depth=1
	ds_load_b32 v2, v1
	s_wait_dscnt 0x0
	v_readfirstlane_b32 s3, v2
	v_add_nc_u32_e32 v2, 1, v0
	s_cmp_eq_u32 s3, 0
	s_delay_alu instid0(VALU_DEP_1) | instskip(SKIP_1) | instid1(SALU_CYCLE_1)
	v_cmp_gt_i32_e64 s2, s3, v2
	s_cselect_b32 s14, -1, 0
	s_or_b32 s2, s14, s2
	s_delay_alu instid0(SALU_CYCLE_1)
	s_and_b32 exec_lo, exec_lo, s2
	s_cbranch_execz .LBB63_4
; %bb.7:                                ;   in Loop: Header=BB63_5 Depth=1
	v_mov_b32_e32 v3, s3
	s_mov_b32 s14, 0
.LBB63_8:                               ;   Parent Loop BB63_5 Depth=1
                                        ; =>  This Inner Loop Header: Depth=2
	ds_cmpstore_rtn_b32 v3, v1, v2, v3
	s_wait_dscnt 0x0
	v_cmp_ne_u32_e64 s2, 0, v3
	v_cmp_le_i32_e64 s3, v3, v2
	s_and_b32 s2, s2, s3
	s_delay_alu instid0(SALU_CYCLE_1) | instskip(NEXT) | instid1(SALU_CYCLE_1)
	s_and_b32 s2, exec_lo, s2
	s_or_b32 s14, s2, s14
	s_delay_alu instid0(SALU_CYCLE_1)
	s_and_not1_b32 exec_lo, exec_lo, s14
	s_cbranch_execnz .LBB63_8
	s_branch .LBB63_4
.LBB63_9:
	s_or_b32 exec_lo, exec_lo, s9
	s_barrier_signal -1
	s_barrier_wait -1
	s_and_saveexec_b32 s2, vcc_lo
	s_cbranch_execz .LBB63_11
; %bb.10:
	v_mov_b32_e32 v0, 0
	s_load_b64 s[0:1], s[0:1], 0x20
	s_lshl_b64 s[2:3], s[4:5], 2
	ds_load_b32 v1, v0
	s_wait_kmcnt 0x0
	s_add_nc_u64 s[0:1], s[0:1], s[2:3]
	s_wait_dscnt 0x0
	global_store_b32 v0, v1, s[0:1]
.LBB63_11:
	s_endpgm
	.section	.rodata,"a",@progbits
	.p2align	6, 0x0
	.amdhsa_kernel _ZN9rocsolver6v33100L17check_singularityI19rocblas_complex_numIfEPKPS3_EEviT0_iilPi
		.amdhsa_group_segment_fixed_size 4
		.amdhsa_private_segment_fixed_size 0
		.amdhsa_kernarg_size 296
		.amdhsa_user_sgpr_count 2
		.amdhsa_user_sgpr_dispatch_ptr 0
		.amdhsa_user_sgpr_queue_ptr 0
		.amdhsa_user_sgpr_kernarg_segment_ptr 1
		.amdhsa_user_sgpr_dispatch_id 0
		.amdhsa_user_sgpr_kernarg_preload_length 0
		.amdhsa_user_sgpr_kernarg_preload_offset 0
		.amdhsa_user_sgpr_private_segment_size 0
		.amdhsa_wavefront_size32 1
		.amdhsa_uses_dynamic_stack 0
		.amdhsa_enable_private_segment 0
		.amdhsa_system_sgpr_workgroup_id_x 1
		.amdhsa_system_sgpr_workgroup_id_y 0
		.amdhsa_system_sgpr_workgroup_id_z 0
		.amdhsa_system_sgpr_workgroup_info 0
		.amdhsa_system_vgpr_workitem_id 1
		.amdhsa_next_free_vgpr 4
		.amdhsa_next_free_sgpr 16
		.amdhsa_named_barrier_count 0
		.amdhsa_reserve_vcc 1
		.amdhsa_float_round_mode_32 0
		.amdhsa_float_round_mode_16_64 0
		.amdhsa_float_denorm_mode_32 3
		.amdhsa_float_denorm_mode_16_64 3
		.amdhsa_fp16_overflow 0
		.amdhsa_memory_ordered 1
		.amdhsa_forward_progress 1
		.amdhsa_inst_pref_size 4
		.amdhsa_round_robin_scheduling 0
		.amdhsa_exception_fp_ieee_invalid_op 0
		.amdhsa_exception_fp_denorm_src 0
		.amdhsa_exception_fp_ieee_div_zero 0
		.amdhsa_exception_fp_ieee_overflow 0
		.amdhsa_exception_fp_ieee_underflow 0
		.amdhsa_exception_fp_ieee_inexact 0
		.amdhsa_exception_int_div_zero 0
	.end_amdhsa_kernel
	.section	.text._ZN9rocsolver6v33100L17check_singularityI19rocblas_complex_numIfEPKPS3_EEviT0_iilPi,"axG",@progbits,_ZN9rocsolver6v33100L17check_singularityI19rocblas_complex_numIfEPKPS3_EEviT0_iilPi,comdat
.Lfunc_end63:
	.size	_ZN9rocsolver6v33100L17check_singularityI19rocblas_complex_numIfEPKPS3_EEviT0_iilPi, .Lfunc_end63-_ZN9rocsolver6v33100L17check_singularityI19rocblas_complex_numIfEPKPS3_EEviT0_iilPi
                                        ; -- End function
	.set _ZN9rocsolver6v33100L17check_singularityI19rocblas_complex_numIfEPKPS3_EEviT0_iilPi.num_vgpr, 4
	.set _ZN9rocsolver6v33100L17check_singularityI19rocblas_complex_numIfEPKPS3_EEviT0_iilPi.num_agpr, 0
	.set _ZN9rocsolver6v33100L17check_singularityI19rocblas_complex_numIfEPKPS3_EEviT0_iilPi.numbered_sgpr, 16
	.set _ZN9rocsolver6v33100L17check_singularityI19rocblas_complex_numIfEPKPS3_EEviT0_iilPi.num_named_barrier, 0
	.set _ZN9rocsolver6v33100L17check_singularityI19rocblas_complex_numIfEPKPS3_EEviT0_iilPi.private_seg_size, 0
	.set _ZN9rocsolver6v33100L17check_singularityI19rocblas_complex_numIfEPKPS3_EEviT0_iilPi.uses_vcc, 1
	.set _ZN9rocsolver6v33100L17check_singularityI19rocblas_complex_numIfEPKPS3_EEviT0_iilPi.uses_flat_scratch, 0
	.set _ZN9rocsolver6v33100L17check_singularityI19rocblas_complex_numIfEPKPS3_EEviT0_iilPi.has_dyn_sized_stack, 0
	.set _ZN9rocsolver6v33100L17check_singularityI19rocblas_complex_numIfEPKPS3_EEviT0_iilPi.has_recursion, 0
	.set _ZN9rocsolver6v33100L17check_singularityI19rocblas_complex_numIfEPKPS3_EEviT0_iilPi.has_indirect_call, 0
	.section	.AMDGPU.csdata,"",@progbits
; Kernel info:
; codeLenInByte = 476
; TotalNumSgprs: 18
; NumVgprs: 4
; ScratchSize: 0
; MemoryBound: 0
; FloatMode: 240
; IeeeMode: 1
; LDSByteSize: 4 bytes/workgroup (compile time only)
; SGPRBlocks: 0
; VGPRBlocks: 0
; NumSGPRsForWavesPerEU: 18
; NumVGPRsForWavesPerEU: 4
; NamedBarCnt: 0
; Occupancy: 16
; WaveLimiterHint : 1
; COMPUTE_PGM_RSRC2:SCRATCH_EN: 0
; COMPUTE_PGM_RSRC2:USER_SGPR: 2
; COMPUTE_PGM_RSRC2:TRAP_HANDLER: 0
; COMPUTE_PGM_RSRC2:TGID_X_EN: 1
; COMPUTE_PGM_RSRC2:TGID_Y_EN: 0
; COMPUTE_PGM_RSRC2:TGID_Z_EN: 0
; COMPUTE_PGM_RSRC2:TIDIG_COMP_CNT: 1
	.section	.text._ZN9rocsolver6v33100L8copy_matI19rocblas_complex_numIfEPKPS3_NS0_9info_maskEEEvNS0_17copymat_directionEiiT0_iilPT_T1_13rocblas_fill_17rocblas_diagonal_,"axG",@progbits,_ZN9rocsolver6v33100L8copy_matI19rocblas_complex_numIfEPKPS3_NS0_9info_maskEEEvNS0_17copymat_directionEiiT0_iilPT_T1_13rocblas_fill_17rocblas_diagonal_,comdat
	.globl	_ZN9rocsolver6v33100L8copy_matI19rocblas_complex_numIfEPKPS3_NS0_9info_maskEEEvNS0_17copymat_directionEiiT0_iilPT_T1_13rocblas_fill_17rocblas_diagonal_ ; -- Begin function _ZN9rocsolver6v33100L8copy_matI19rocblas_complex_numIfEPKPS3_NS0_9info_maskEEEvNS0_17copymat_directionEiiT0_iilPT_T1_13rocblas_fill_17rocblas_diagonal_
	.p2align	8
	.type	_ZN9rocsolver6v33100L8copy_matI19rocblas_complex_numIfEPKPS3_NS0_9info_maskEEEvNS0_17copymat_directionEiiT0_iilPT_T1_13rocblas_fill_17rocblas_diagonal_,@function
_ZN9rocsolver6v33100L8copy_matI19rocblas_complex_numIfEPKPS3_NS0_9info_maskEEEvNS0_17copymat_directionEiiT0_iilPT_T1_13rocblas_fill_17rocblas_diagonal_: ; @_ZN9rocsolver6v33100L8copy_matI19rocblas_complex_numIfEPKPS3_NS0_9info_maskEEEvNS0_17copymat_directionEiiT0_iilPT_T1_13rocblas_fill_17rocblas_diagonal_
; %bb.0:
	s_clause 0x2
	s_load_b32 s2, s[0:1], 0x38
	s_load_b32 s3, s[0:1], 0x54
	s_load_b128 s[4:7], s[0:1], 0x28
	s_bfe_u32 s9, ttmp6, 0x4000c
	s_bfe_u32 s10, ttmp6, 0x40010
	;; [unrolled: 1-line block ×3, first 2 shown]
	s_add_co_i32 s9, s9, 1
	s_and_b32 s8, ttmp6, 15
	s_and_b32 s11, ttmp7, 0xffff
	s_lshr_b32 s13, ttmp7, 16
	s_add_co_i32 s10, s10, 1
	s_add_co_i32 s14, s14, 1
	s_mul_i32 s9, ttmp9, s9
	s_bfe_u32 s12, ttmp6, 0x40004
	s_mul_i32 s10, s11, s10
	s_mul_i32 s14, s13, s14
	s_add_co_i32 s15, s8, s9
	s_bfe_u32 s8, ttmp6, 0x40008
	s_getreg_b32 s9, hwreg(HW_REG_IB_STS2, 6, 4)
	s_add_co_i32 s16, s12, s10
	s_wait_kmcnt 0x0
	s_and_b32 s17, s2, 0xff
	s_lshr_b32 s2, s3, 16
	s_and_b32 s3, s3, 0xffff
	s_add_co_i32 s8, s8, s14
	s_cmp_eq_u32 s9, 0
	v_bfe_u32 v1, v0, 10, 10
	s_cselect_b32 s12, s13, s8
	s_load_b32 s13, s[6:7], s12 offset:0x0 scale_offset
	s_load_b96 s[8:10], s[0:1], 0x0
	v_and_b32_e32 v2, 0x3ff, v0
	s_wait_xcnt 0x0
	s_cselect_b32 s6, s11, s16
	s_cselect_b32 s7, ttmp9, s15
	v_mad_u32 v0, s6, s2, v1
	v_mad_u32 v1, s7, s3, v2
	s_wait_kmcnt 0x0
	s_cmp_lg_u32 s13, 0
	s_delay_alu instid0(VALU_DEP_1) | instskip(SKIP_1) | instid1(SALU_CYCLE_1)
	v_cmp_gt_u32_e32 vcc_lo, s9, v1
	s_cselect_b32 s2, -1, 0
	v_cndmask_b32_e64 v2, 0, 1, s2
	s_delay_alu instid0(VALU_DEP_4) | instskip(NEXT) | instid1(VALU_DEP_2)
	v_cmp_gt_u32_e64 s2, s10, v0
	v_readfirstlane_b32 s3, v2
	s_cmp_lg_u32 s17, s3
	s_cselect_b32 s3, -1, 0
	s_and_b32 s2, s2, vcc_lo
	s_delay_alu instid0(SALU_CYCLE_1) | instskip(NEXT) | instid1(SALU_CYCLE_1)
	s_and_b32 s2, s2, s3
	s_and_saveexec_b32 s3, s2
	s_cbranch_execz .LBB64_16
; %bb.1:
	s_load_b64 s[6:7], s[0:1], 0x40
	s_wait_kmcnt 0x0
	s_cmp_lt_i32 s6, 0x7a
	s_cbranch_scc1 .LBB64_4
; %bb.2:
	s_cmp_gt_i32 s6, 0x7a
	s_cbranch_scc0 .LBB64_5
; %bb.3:
	s_cmp_lg_u32 s6, 0x7b
	s_mov_b32 s3, -1
	s_cselect_b32 s11, -1, 0
	s_cbranch_execz .LBB64_6
	s_branch .LBB64_7
.LBB64_4:
	s_mov_b32 s11, 0
	s_mov_b32 s3, 0
	s_cbranch_execnz .LBB64_8
	s_branch .LBB64_10
.LBB64_5:
	s_mov_b32 s3, 0
	s_mov_b32 s11, 0
.LBB64_6:
	v_cmp_gt_u32_e32 vcc_lo, v1, v0
	v_cmp_le_u32_e64 s2, v1, v0
	s_and_not1_b32 s3, s3, exec_lo
	s_and_not1_b32 s11, s11, exec_lo
	s_and_b32 s13, vcc_lo, exec_lo
	s_and_b32 s2, s2, exec_lo
	s_or_b32 s3, s3, s13
	s_or_b32 s11, s11, s2
.LBB64_7:
	s_branch .LBB64_10
.LBB64_8:
	s_cmp_eq_u32 s6, 0x79
	s_mov_b32 s11, -1
	s_cbranch_scc0 .LBB64_10
; %bb.9:
	v_cmp_gt_u32_e32 vcc_lo, v0, v1
	v_cmp_le_u32_e64 s2, v0, v1
	s_and_not1_b32 s3, s3, exec_lo
	s_and_b32 s6, vcc_lo, exec_lo
	s_or_not1_b32 s11, s2, exec_lo
	s_or_b32 s3, s3, s6
.LBB64_10:
	s_and_saveexec_b32 s2, s11
; %bb.11:
	v_cmp_eq_u32_e32 vcc_lo, v1, v0
	s_cmp_eq_u32 s7, 0x83
	s_cselect_b32 s6, -1, 0
	s_and_not1_b32 s3, s3, exec_lo
	s_and_b32 s6, s6, vcc_lo
	s_delay_alu instid0(SALU_CYCLE_1) | instskip(NEXT) | instid1(SALU_CYCLE_1)
	s_and_b32 s6, s6, exec_lo
	s_or_b32 s3, s3, s6
; %bb.12:
	s_or_b32 exec_lo, exec_lo, s2
	s_delay_alu instid0(SALU_CYCLE_1)
	s_and_b32 exec_lo, exec_lo, s3
	s_cbranch_execz .LBB64_16
; %bb.13:
	s_load_b128 s[0:3], s[0:1], 0x10
	s_mov_b32 s6, s9
	s_ashr_i32 s7, s9, 31
	v_mad_u32 v2, v0, s6, v1
	s_mov_b32 s13, 0
	s_ashr_i32 s11, s10, 31
	s_mul_u64 s[6:7], s[6:7], s[12:13]
	s_delay_alu instid0(SALU_CYCLE_1) | instskip(NEXT) | instid1(SALU_CYCLE_1)
	s_mul_u64 s[6:7], s[6:7], s[10:11]
	s_lshl_b64 s[6:7], s[6:7], 3
	s_wait_kmcnt 0x0
	s_load_b64 s[0:1], s[0:1], s12 offset:0x0 scale_offset
	v_mad_u32 v0, v0, s3, v1
	s_ashr_i32 s3, s2, 31
	s_delay_alu instid0(SALU_CYCLE_1)
	s_lshl_b64 s[2:3], s[2:3], 3
	s_cmp_lg_u32 s8, 0
	s_wait_kmcnt 0x0
	s_add_nc_u64 s[0:1], s[0:1], s[2:3]
	s_add_nc_u64 s[2:3], s[4:5], s[6:7]
	s_cbranch_scc0 .LBB64_17
; %bb.14:
	global_load_b64 v[4:5], v2, s[2:3] scale_offset
	s_wait_loadcnt 0x0
	flat_store_b64 v0, v[4:5], s[0:1] scale_offset
	s_and_not1_b32 vcc_lo, exec_lo, s13
	s_cbranch_vccnz .LBB64_16
.LBB64_15:
	flat_load_b64 v[0:1], v0, s[0:1] scale_offset
	s_wait_loadcnt_dscnt 0x0
	global_store_b64 v2, v[0:1], s[2:3] scale_offset
.LBB64_16:
	s_endpgm
.LBB64_17:
	s_branch .LBB64_15
	.section	.rodata,"a",@progbits
	.p2align	6, 0x0
	.amdhsa_kernel _ZN9rocsolver6v33100L8copy_matI19rocblas_complex_numIfEPKPS3_NS0_9info_maskEEEvNS0_17copymat_directionEiiT0_iilPT_T1_13rocblas_fill_17rocblas_diagonal_
		.amdhsa_group_segment_fixed_size 0
		.amdhsa_private_segment_fixed_size 0
		.amdhsa_kernarg_size 328
		.amdhsa_user_sgpr_count 2
		.amdhsa_user_sgpr_dispatch_ptr 0
		.amdhsa_user_sgpr_queue_ptr 0
		.amdhsa_user_sgpr_kernarg_segment_ptr 1
		.amdhsa_user_sgpr_dispatch_id 0
		.amdhsa_user_sgpr_kernarg_preload_length 0
		.amdhsa_user_sgpr_kernarg_preload_offset 0
		.amdhsa_user_sgpr_private_segment_size 0
		.amdhsa_wavefront_size32 1
		.amdhsa_uses_dynamic_stack 0
		.amdhsa_enable_private_segment 0
		.amdhsa_system_sgpr_workgroup_id_x 1
		.amdhsa_system_sgpr_workgroup_id_y 1
		.amdhsa_system_sgpr_workgroup_id_z 1
		.amdhsa_system_sgpr_workgroup_info 0
		.amdhsa_system_vgpr_workitem_id 1
		.amdhsa_next_free_vgpr 6
		.amdhsa_next_free_sgpr 18
		.amdhsa_named_barrier_count 0
		.amdhsa_reserve_vcc 1
		.amdhsa_float_round_mode_32 0
		.amdhsa_float_round_mode_16_64 0
		.amdhsa_float_denorm_mode_32 3
		.amdhsa_float_denorm_mode_16_64 3
		.amdhsa_fp16_overflow 0
		.amdhsa_memory_ordered 1
		.amdhsa_forward_progress 1
		.amdhsa_inst_pref_size 6
		.amdhsa_round_robin_scheduling 0
		.amdhsa_exception_fp_ieee_invalid_op 0
		.amdhsa_exception_fp_denorm_src 0
		.amdhsa_exception_fp_ieee_div_zero 0
		.amdhsa_exception_fp_ieee_overflow 0
		.amdhsa_exception_fp_ieee_underflow 0
		.amdhsa_exception_fp_ieee_inexact 0
		.amdhsa_exception_int_div_zero 0
	.end_amdhsa_kernel
	.section	.text._ZN9rocsolver6v33100L8copy_matI19rocblas_complex_numIfEPKPS3_NS0_9info_maskEEEvNS0_17copymat_directionEiiT0_iilPT_T1_13rocblas_fill_17rocblas_diagonal_,"axG",@progbits,_ZN9rocsolver6v33100L8copy_matI19rocblas_complex_numIfEPKPS3_NS0_9info_maskEEEvNS0_17copymat_directionEiiT0_iilPT_T1_13rocblas_fill_17rocblas_diagonal_,comdat
.Lfunc_end64:
	.size	_ZN9rocsolver6v33100L8copy_matI19rocblas_complex_numIfEPKPS3_NS0_9info_maskEEEvNS0_17copymat_directionEiiT0_iilPT_T1_13rocblas_fill_17rocblas_diagonal_, .Lfunc_end64-_ZN9rocsolver6v33100L8copy_matI19rocblas_complex_numIfEPKPS3_NS0_9info_maskEEEvNS0_17copymat_directionEiiT0_iilPT_T1_13rocblas_fill_17rocblas_diagonal_
                                        ; -- End function
	.set _ZN9rocsolver6v33100L8copy_matI19rocblas_complex_numIfEPKPS3_NS0_9info_maskEEEvNS0_17copymat_directionEiiT0_iilPT_T1_13rocblas_fill_17rocblas_diagonal_.num_vgpr, 6
	.set _ZN9rocsolver6v33100L8copy_matI19rocblas_complex_numIfEPKPS3_NS0_9info_maskEEEvNS0_17copymat_directionEiiT0_iilPT_T1_13rocblas_fill_17rocblas_diagonal_.num_agpr, 0
	.set _ZN9rocsolver6v33100L8copy_matI19rocblas_complex_numIfEPKPS3_NS0_9info_maskEEEvNS0_17copymat_directionEiiT0_iilPT_T1_13rocblas_fill_17rocblas_diagonal_.numbered_sgpr, 18
	.set _ZN9rocsolver6v33100L8copy_matI19rocblas_complex_numIfEPKPS3_NS0_9info_maskEEEvNS0_17copymat_directionEiiT0_iilPT_T1_13rocblas_fill_17rocblas_diagonal_.num_named_barrier, 0
	.set _ZN9rocsolver6v33100L8copy_matI19rocblas_complex_numIfEPKPS3_NS0_9info_maskEEEvNS0_17copymat_directionEiiT0_iilPT_T1_13rocblas_fill_17rocblas_diagonal_.private_seg_size, 0
	.set _ZN9rocsolver6v33100L8copy_matI19rocblas_complex_numIfEPKPS3_NS0_9info_maskEEEvNS0_17copymat_directionEiiT0_iilPT_T1_13rocblas_fill_17rocblas_diagonal_.uses_vcc, 1
	.set _ZN9rocsolver6v33100L8copy_matI19rocblas_complex_numIfEPKPS3_NS0_9info_maskEEEvNS0_17copymat_directionEiiT0_iilPT_T1_13rocblas_fill_17rocblas_diagonal_.uses_flat_scratch, 0
	.set _ZN9rocsolver6v33100L8copy_matI19rocblas_complex_numIfEPKPS3_NS0_9info_maskEEEvNS0_17copymat_directionEiiT0_iilPT_T1_13rocblas_fill_17rocblas_diagonal_.has_dyn_sized_stack, 0
	.set _ZN9rocsolver6v33100L8copy_matI19rocblas_complex_numIfEPKPS3_NS0_9info_maskEEEvNS0_17copymat_directionEiiT0_iilPT_T1_13rocblas_fill_17rocblas_diagonal_.has_recursion, 0
	.set _ZN9rocsolver6v33100L8copy_matI19rocblas_complex_numIfEPKPS3_NS0_9info_maskEEEvNS0_17copymat_directionEiiT0_iilPT_T1_13rocblas_fill_17rocblas_diagonal_.has_indirect_call, 0
	.section	.AMDGPU.csdata,"",@progbits
; Kernel info:
; codeLenInByte = 684
; TotalNumSgprs: 20
; NumVgprs: 6
; ScratchSize: 0
; MemoryBound: 0
; FloatMode: 240
; IeeeMode: 1
; LDSByteSize: 0 bytes/workgroup (compile time only)
; SGPRBlocks: 0
; VGPRBlocks: 0
; NumSGPRsForWavesPerEU: 20
; NumVGPRsForWavesPerEU: 6
; NamedBarCnt: 0
; Occupancy: 16
; WaveLimiterHint : 1
; COMPUTE_PGM_RSRC2:SCRATCH_EN: 0
; COMPUTE_PGM_RSRC2:USER_SGPR: 2
; COMPUTE_PGM_RSRC2:TRAP_HANDLER: 0
; COMPUTE_PGM_RSRC2:TGID_X_EN: 1
; COMPUTE_PGM_RSRC2:TGID_Y_EN: 1
; COMPUTE_PGM_RSRC2:TGID_Z_EN: 1
; COMPUTE_PGM_RSRC2:TIDIG_COMP_CNT: 1
	.section	.text._ZN9rocsolver6v33100L13gels_set_zeroI19rocblas_complex_numIfEPKPS3_EEviiiT0_iilPKi,"axG",@progbits,_ZN9rocsolver6v33100L13gels_set_zeroI19rocblas_complex_numIfEPKPS3_EEviiiT0_iilPKi,comdat
	.globl	_ZN9rocsolver6v33100L13gels_set_zeroI19rocblas_complex_numIfEPKPS3_EEviiiT0_iilPKi ; -- Begin function _ZN9rocsolver6v33100L13gels_set_zeroI19rocblas_complex_numIfEPKPS3_EEviiiT0_iilPKi
	.p2align	8
	.type	_ZN9rocsolver6v33100L13gels_set_zeroI19rocblas_complex_numIfEPKPS3_EEviiiT0_iilPKi,@function
_ZN9rocsolver6v33100L13gels_set_zeroI19rocblas_complex_numIfEPKPS3_EEviiiT0_iilPKi: ; @_ZN9rocsolver6v33100L13gels_set_zeroI19rocblas_complex_numIfEPKPS3_EEviiiT0_iilPKi
; %bb.0:
	s_clause 0x1
	s_load_b32 s2, s[0:1], 0x3c
	s_load_b96 s[4:6], s[0:1], 0x0
	s_bfe_u32 s8, ttmp6, 0x4000c
	s_bfe_u32 s10, ttmp6, 0x40010
	s_and_b32 s9, ttmp7, 0xffff
	s_add_co_i32 s8, s8, 1
	s_add_co_i32 s10, s10, 1
	s_and_b32 s7, ttmp6, 15
	s_bfe_u32 s11, ttmp6, 0x40004
	s_mul_i32 s8, ttmp9, s8
	s_mul_i32 s10, s9, s10
	s_getreg_b32 s3, hwreg(HW_REG_IB_STS2, 6, 4)
	v_bfe_u32 v2, v0, 10, 10
	v_and_b32_e32 v0, 0x3ff, v0
	s_add_co_i32 s7, s7, s8
	s_add_co_i32 s11, s11, s10
	s_wait_kmcnt 0x0
	s_lshr_b32 s8, s2, 16
	s_and_b32 s2, s2, 0xffff
	s_cmp_eq_u32 s3, 0
	s_cselect_b32 s7, ttmp9, s7
	s_cselect_b32 s9, s9, s11
	v_mad_u32 v1, s7, s2, v0
	v_mad_u32 v0, s9, s8, v2
	s_sub_co_i32 s2, s5, s4
	s_delay_alu instid0(VALU_DEP_2) | instid1(SALU_CYCLE_1)
	v_cmp_gt_u32_e32 vcc_lo, s2, v1
	s_delay_alu instid0(VALU_DEP_2) | instskip(SKIP_1) | instid1(SALU_CYCLE_1)
	v_cmp_gt_u32_e64 s2, s6, v0
	s_and_b32 s2, s2, vcc_lo
	s_and_saveexec_b32 s5, s2
	s_cbranch_execz .LBB65_2
; %bb.1:
	s_load_b64 s[6:7], s[0:1], 0x28
	s_bfe_u32 s2, ttmp6, 0x40014
	s_lshr_b32 s5, ttmp7, 16
	s_add_co_i32 s2, s2, 1
	s_bfe_u32 s8, ttmp6, 0x40008
	s_mul_i32 s2, s5, s2
	s_delay_alu instid0(SALU_CYCLE_1)
	s_add_co_i32 s8, s8, s2
	s_cmp_eq_u32 s3, 0
	s_cselect_b32 s2, s5, s8
	s_wait_kmcnt 0x0
	s_load_b32 s3, s[6:7], s2 offset:0x0 scale_offset
	s_wait_kmcnt 0x0
	s_cmp_lg_u32 s3, 0
	s_cbranch_scc0 .LBB65_3
.LBB65_2:
	s_endpgm
.LBB65_3:
	s_load_b128 s[8:11], s[0:1], 0x10
	v_add_nc_u32_e32 v1, s4, v1
	s_wait_kmcnt 0x0
	s_load_b64 s[0:1], s[8:9], s2 offset:0x0 scale_offset
	s_delay_alu instid0(VALU_DEP_1) | instskip(SKIP_4) | instid1(SALU_CYCLE_1)
	v_mad_u32 v2, v0, s11, v1
	v_mov_b64_e32 v[0:1], 0
	s_ashr_i32 s3, s10, 31
	s_wait_xcnt 0x0
	s_mov_b32 s2, s10
	s_lshl_b64 s[2:3], s[2:3], 3
	s_wait_kmcnt 0x0
	s_add_nc_u64 s[0:1], s[0:1], s[2:3]
	flat_store_b64 v2, v[0:1], s[0:1] scale_offset
	s_endpgm
	.section	.rodata,"a",@progbits
	.p2align	6, 0x0
	.amdhsa_kernel _ZN9rocsolver6v33100L13gels_set_zeroI19rocblas_complex_numIfEPKPS3_EEviiiT0_iilPKi
		.amdhsa_group_segment_fixed_size 0
		.amdhsa_private_segment_fixed_size 0
		.amdhsa_kernarg_size 304
		.amdhsa_user_sgpr_count 2
		.amdhsa_user_sgpr_dispatch_ptr 0
		.amdhsa_user_sgpr_queue_ptr 0
		.amdhsa_user_sgpr_kernarg_segment_ptr 1
		.amdhsa_user_sgpr_dispatch_id 0
		.amdhsa_user_sgpr_kernarg_preload_length 0
		.amdhsa_user_sgpr_kernarg_preload_offset 0
		.amdhsa_user_sgpr_private_segment_size 0
		.amdhsa_wavefront_size32 1
		.amdhsa_uses_dynamic_stack 0
		.amdhsa_enable_private_segment 0
		.amdhsa_system_sgpr_workgroup_id_x 1
		.amdhsa_system_sgpr_workgroup_id_y 1
		.amdhsa_system_sgpr_workgroup_id_z 1
		.amdhsa_system_sgpr_workgroup_info 0
		.amdhsa_system_vgpr_workitem_id 1
		.amdhsa_next_free_vgpr 3
		.amdhsa_next_free_sgpr 12
		.amdhsa_named_barrier_count 0
		.amdhsa_reserve_vcc 1
		.amdhsa_float_round_mode_32 0
		.amdhsa_float_round_mode_16_64 0
		.amdhsa_float_denorm_mode_32 3
		.amdhsa_float_denorm_mode_16_64 3
		.amdhsa_fp16_overflow 0
		.amdhsa_memory_ordered 1
		.amdhsa_forward_progress 1
		.amdhsa_inst_pref_size 3
		.amdhsa_round_robin_scheduling 0
		.amdhsa_exception_fp_ieee_invalid_op 0
		.amdhsa_exception_fp_denorm_src 0
		.amdhsa_exception_fp_ieee_div_zero 0
		.amdhsa_exception_fp_ieee_overflow 0
		.amdhsa_exception_fp_ieee_underflow 0
		.amdhsa_exception_fp_ieee_inexact 0
		.amdhsa_exception_int_div_zero 0
	.end_amdhsa_kernel
	.section	.text._ZN9rocsolver6v33100L13gels_set_zeroI19rocblas_complex_numIfEPKPS3_EEviiiT0_iilPKi,"axG",@progbits,_ZN9rocsolver6v33100L13gels_set_zeroI19rocblas_complex_numIfEPKPS3_EEviiiT0_iilPKi,comdat
.Lfunc_end65:
	.size	_ZN9rocsolver6v33100L13gels_set_zeroI19rocblas_complex_numIfEPKPS3_EEviiiT0_iilPKi, .Lfunc_end65-_ZN9rocsolver6v33100L13gels_set_zeroI19rocblas_complex_numIfEPKPS3_EEviiiT0_iilPKi
                                        ; -- End function
	.set _ZN9rocsolver6v33100L13gels_set_zeroI19rocblas_complex_numIfEPKPS3_EEviiiT0_iilPKi.num_vgpr, 3
	.set _ZN9rocsolver6v33100L13gels_set_zeroI19rocblas_complex_numIfEPKPS3_EEviiiT0_iilPKi.num_agpr, 0
	.set _ZN9rocsolver6v33100L13gels_set_zeroI19rocblas_complex_numIfEPKPS3_EEviiiT0_iilPKi.numbered_sgpr, 12
	.set _ZN9rocsolver6v33100L13gels_set_zeroI19rocblas_complex_numIfEPKPS3_EEviiiT0_iilPKi.num_named_barrier, 0
	.set _ZN9rocsolver6v33100L13gels_set_zeroI19rocblas_complex_numIfEPKPS3_EEviiiT0_iilPKi.private_seg_size, 0
	.set _ZN9rocsolver6v33100L13gels_set_zeroI19rocblas_complex_numIfEPKPS3_EEviiiT0_iilPKi.uses_vcc, 1
	.set _ZN9rocsolver6v33100L13gels_set_zeroI19rocblas_complex_numIfEPKPS3_EEviiiT0_iilPKi.uses_flat_scratch, 0
	.set _ZN9rocsolver6v33100L13gels_set_zeroI19rocblas_complex_numIfEPKPS3_EEviiiT0_iilPKi.has_dyn_sized_stack, 0
	.set _ZN9rocsolver6v33100L13gels_set_zeroI19rocblas_complex_numIfEPKPS3_EEviiiT0_iilPKi.has_recursion, 0
	.set _ZN9rocsolver6v33100L13gels_set_zeroI19rocblas_complex_numIfEPKPS3_EEviiiT0_iilPKi.has_indirect_call, 0
	.section	.AMDGPU.csdata,"",@progbits
; Kernel info:
; codeLenInByte = 340
; TotalNumSgprs: 14
; NumVgprs: 3
; ScratchSize: 0
; MemoryBound: 0
; FloatMode: 240
; IeeeMode: 1
; LDSByteSize: 0 bytes/workgroup (compile time only)
; SGPRBlocks: 0
; VGPRBlocks: 0
; NumSGPRsForWavesPerEU: 14
; NumVGPRsForWavesPerEU: 3
; NamedBarCnt: 0
; Occupancy: 16
; WaveLimiterHint : 1
; COMPUTE_PGM_RSRC2:SCRATCH_EN: 0
; COMPUTE_PGM_RSRC2:USER_SGPR: 2
; COMPUTE_PGM_RSRC2:TRAP_HANDLER: 0
; COMPUTE_PGM_RSRC2:TGID_X_EN: 1
; COMPUTE_PGM_RSRC2:TGID_Y_EN: 1
; COMPUTE_PGM_RSRC2:TGID_Z_EN: 1
; COMPUTE_PGM_RSRC2:TIDIG_COMP_CNT: 1
	.section	.text._ZN9rocsolver6v33100L6iota_nI19rocblas_complex_numIdEEEvPT_jS4_,"axG",@progbits,_ZN9rocsolver6v33100L6iota_nI19rocblas_complex_numIdEEEvPT_jS4_,comdat
	.globl	_ZN9rocsolver6v33100L6iota_nI19rocblas_complex_numIdEEEvPT_jS4_ ; -- Begin function _ZN9rocsolver6v33100L6iota_nI19rocblas_complex_numIdEEEvPT_jS4_
	.p2align	8
	.type	_ZN9rocsolver6v33100L6iota_nI19rocblas_complex_numIdEEEvPT_jS4_,@function
_ZN9rocsolver6v33100L6iota_nI19rocblas_complex_numIdEEEvPT_jS4_: ; @_ZN9rocsolver6v33100L6iota_nI19rocblas_complex_numIdEEEvPT_jS4_
; %bb.0:
	s_load_b32 s2, s[0:1], 0x8
	s_wait_kmcnt 0x0
	v_cmp_gt_u32_e32 vcc_lo, s2, v0
	s_and_saveexec_b32 s2, vcc_lo
	s_cbranch_execz .LBB66_2
; %bb.1:
	v_cvt_f64_u32_e32 v[2:3], v0
	s_load_b128 s[4:7], s[0:1], 0x10
	s_wait_kmcnt 0x0
	v_add_f64_e64 v[4:5], s[6:7], 0
	s_load_b64 s[0:1], s[0:1], 0x0
	s_delay_alu instid0(VALU_DEP_2)
	v_add_f64_e32 v[2:3], s[4:5], v[2:3]
	s_wait_kmcnt 0x0
	global_store_b128 v0, v[2:5], s[0:1] scale_offset
.LBB66_2:
	s_endpgm
	.section	.rodata,"a",@progbits
	.p2align	6, 0x0
	.amdhsa_kernel _ZN9rocsolver6v33100L6iota_nI19rocblas_complex_numIdEEEvPT_jS4_
		.amdhsa_group_segment_fixed_size 0
		.amdhsa_private_segment_fixed_size 0
		.amdhsa_kernarg_size 32
		.amdhsa_user_sgpr_count 2
		.amdhsa_user_sgpr_dispatch_ptr 0
		.amdhsa_user_sgpr_queue_ptr 0
		.amdhsa_user_sgpr_kernarg_segment_ptr 1
		.amdhsa_user_sgpr_dispatch_id 0
		.amdhsa_user_sgpr_kernarg_preload_length 0
		.amdhsa_user_sgpr_kernarg_preload_offset 0
		.amdhsa_user_sgpr_private_segment_size 0
		.amdhsa_wavefront_size32 1
		.amdhsa_uses_dynamic_stack 0
		.amdhsa_enable_private_segment 0
		.amdhsa_system_sgpr_workgroup_id_x 1
		.amdhsa_system_sgpr_workgroup_id_y 0
		.amdhsa_system_sgpr_workgroup_id_z 0
		.amdhsa_system_sgpr_workgroup_info 0
		.amdhsa_system_vgpr_workitem_id 0
		.amdhsa_next_free_vgpr 6
		.amdhsa_next_free_sgpr 8
		.amdhsa_named_barrier_count 0
		.amdhsa_reserve_vcc 1
		.amdhsa_float_round_mode_32 0
		.amdhsa_float_round_mode_16_64 0
		.amdhsa_float_denorm_mode_32 3
		.amdhsa_float_denorm_mode_16_64 3
		.amdhsa_fp16_overflow 0
		.amdhsa_memory_ordered 1
		.amdhsa_forward_progress 1
		.amdhsa_inst_pref_size 1
		.amdhsa_round_robin_scheduling 0
		.amdhsa_exception_fp_ieee_invalid_op 0
		.amdhsa_exception_fp_denorm_src 0
		.amdhsa_exception_fp_ieee_div_zero 0
		.amdhsa_exception_fp_ieee_overflow 0
		.amdhsa_exception_fp_ieee_underflow 0
		.amdhsa_exception_fp_ieee_inexact 0
		.amdhsa_exception_int_div_zero 0
	.end_amdhsa_kernel
	.section	.text._ZN9rocsolver6v33100L6iota_nI19rocblas_complex_numIdEEEvPT_jS4_,"axG",@progbits,_ZN9rocsolver6v33100L6iota_nI19rocblas_complex_numIdEEEvPT_jS4_,comdat
.Lfunc_end66:
	.size	_ZN9rocsolver6v33100L6iota_nI19rocblas_complex_numIdEEEvPT_jS4_, .Lfunc_end66-_ZN9rocsolver6v33100L6iota_nI19rocblas_complex_numIdEEEvPT_jS4_
                                        ; -- End function
	.set _ZN9rocsolver6v33100L6iota_nI19rocblas_complex_numIdEEEvPT_jS4_.num_vgpr, 6
	.set _ZN9rocsolver6v33100L6iota_nI19rocblas_complex_numIdEEEvPT_jS4_.num_agpr, 0
	.set _ZN9rocsolver6v33100L6iota_nI19rocblas_complex_numIdEEEvPT_jS4_.numbered_sgpr, 8
	.set _ZN9rocsolver6v33100L6iota_nI19rocblas_complex_numIdEEEvPT_jS4_.num_named_barrier, 0
	.set _ZN9rocsolver6v33100L6iota_nI19rocblas_complex_numIdEEEvPT_jS4_.private_seg_size, 0
	.set _ZN9rocsolver6v33100L6iota_nI19rocblas_complex_numIdEEEvPT_jS4_.uses_vcc, 1
	.set _ZN9rocsolver6v33100L6iota_nI19rocblas_complex_numIdEEEvPT_jS4_.uses_flat_scratch, 0
	.set _ZN9rocsolver6v33100L6iota_nI19rocblas_complex_numIdEEEvPT_jS4_.has_dyn_sized_stack, 0
	.set _ZN9rocsolver6v33100L6iota_nI19rocblas_complex_numIdEEEvPT_jS4_.has_recursion, 0
	.set _ZN9rocsolver6v33100L6iota_nI19rocblas_complex_numIdEEEvPT_jS4_.has_indirect_call, 0
	.section	.AMDGPU.csdata,"",@progbits
; Kernel info:
; codeLenInByte = 84
; TotalNumSgprs: 10
; NumVgprs: 6
; ScratchSize: 0
; MemoryBound: 0
; FloatMode: 240
; IeeeMode: 1
; LDSByteSize: 0 bytes/workgroup (compile time only)
; SGPRBlocks: 0
; VGPRBlocks: 0
; NumSGPRsForWavesPerEU: 10
; NumVGPRsForWavesPerEU: 6
; NamedBarCnt: 0
; Occupancy: 16
; WaveLimiterHint : 0
; COMPUTE_PGM_RSRC2:SCRATCH_EN: 0
; COMPUTE_PGM_RSRC2:USER_SGPR: 2
; COMPUTE_PGM_RSRC2:TRAP_HANDLER: 0
; COMPUTE_PGM_RSRC2:TGID_X_EN: 1
; COMPUTE_PGM_RSRC2:TGID_Y_EN: 0
; COMPUTE_PGM_RSRC2:TGID_Z_EN: 0
; COMPUTE_PGM_RSRC2:TIDIG_COMP_CNT: 0
	.section	.text._ZN9rocsolver6v33100L8set_zeroI19rocblas_complex_numIdEPKPS3_EEviiT0_iil13rocblas_fill_,"axG",@progbits,_ZN9rocsolver6v33100L8set_zeroI19rocblas_complex_numIdEPKPS3_EEviiT0_iil13rocblas_fill_,comdat
	.globl	_ZN9rocsolver6v33100L8set_zeroI19rocblas_complex_numIdEPKPS3_EEviiT0_iil13rocblas_fill_ ; -- Begin function _ZN9rocsolver6v33100L8set_zeroI19rocblas_complex_numIdEPKPS3_EEviiT0_iil13rocblas_fill_
	.p2align	8
	.type	_ZN9rocsolver6v33100L8set_zeroI19rocblas_complex_numIdEPKPS3_EEviiT0_iil13rocblas_fill_,@function
_ZN9rocsolver6v33100L8set_zeroI19rocblas_complex_numIdEPKPS3_EEviiT0_iil13rocblas_fill_: ; @_ZN9rocsolver6v33100L8set_zeroI19rocblas_complex_numIdEPKPS3_EEviiT0_iil13rocblas_fill_
; %bb.0:
	s_clause 0x1
	s_load_b32 s2, s[0:1], 0x34
	s_load_b64 s[4:5], s[0:1], 0x0
	s_bfe_u32 s7, ttmp6, 0x40010
	s_bfe_u32 s10, ttmp6, 0x4000c
	s_and_b32 s6, ttmp7, 0xffff
	s_add_co_i32 s7, s7, 1
	s_add_co_i32 s10, s10, 1
	s_bfe_u32 s8, ttmp6, 0x40004
	s_and_b32 s9, ttmp6, 15
	s_mul_i32 s7, s6, s7
	s_mul_i32 s10, ttmp9, s10
	s_getreg_b32 s3, hwreg(HW_REG_IB_STS2, 6, 4)
	v_and_b32_e32 v1, 0x3ff, v0
	v_bfe_u32 v2, v0, 10, 10
	s_add_co_i32 s8, s8, s7
	s_add_co_i32 s9, s9, s10
	s_wait_kmcnt 0x0
	s_lshr_b32 s7, s2, 16
	s_and_b32 s2, s2, 0xffff
	s_cmp_eq_u32 s3, 0
	s_cselect_b32 s9, ttmp9, s9
	s_cselect_b32 s6, s6, s8
	v_mad_u32 v0, s9, s2, v1
	v_mad_u32 v1, s6, s7, v2
	s_delay_alu instid0(VALU_DEP_2) | instskip(NEXT) | instid1(VALU_DEP_2)
	v_cmp_gt_u32_e32 vcc_lo, s4, v0
	v_cmp_gt_u32_e64 s2, s5, v1
	s_and_b32 s2, vcc_lo, s2
	s_delay_alu instid0(SALU_CYCLE_1)
	s_and_saveexec_b32 s4, s2
	s_cbranch_execz .LBB67_12
; %bb.1:
	s_load_b32 s4, s[0:1], 0x20
	s_wait_kmcnt 0x0
	s_cmp_lt_i32 s4, 0x7a
	s_cbranch_scc1 .LBB67_4
; %bb.2:
	s_cmp_gt_i32 s4, 0x7a
	s_cbranch_scc0 .LBB67_5
; %bb.3:
	s_cmp_eq_u32 s4, 0x7b
	s_cselect_b32 s2, -1, 0
	s_cbranch_execz .LBB67_6
	s_branch .LBB67_7
.LBB67_4:
	s_mov_b32 s2, 0
	s_cbranch_execnz .LBB67_8
	s_branch .LBB67_10
.LBB67_5:
	s_mov_b32 s2, 0
.LBB67_6:
	v_cmp_gt_u32_e32 vcc_lo, v1, v0
	s_and_not1_b32 s2, s2, exec_lo
	s_and_b32 s5, vcc_lo, exec_lo
	s_delay_alu instid0(SALU_CYCLE_1)
	s_or_b32 s2, s2, s5
.LBB67_7:
	s_branch .LBB67_10
.LBB67_8:
	s_cmp_eq_u32 s4, 0x79
	s_cbranch_scc0 .LBB67_10
; %bb.9:
	v_cmp_gt_u32_e32 vcc_lo, v0, v1
	s_and_not1_b32 s2, s2, exec_lo
	s_and_b32 s4, vcc_lo, exec_lo
	s_delay_alu instid0(SALU_CYCLE_1)
	s_or_b32 s2, s2, s4
.LBB67_10:
	s_delay_alu instid0(SALU_CYCLE_1)
	s_and_b32 exec_lo, exec_lo, s2
	s_cbranch_execz .LBB67_12
; %bb.11:
	s_load_b128 s[4:7], s[0:1], 0x8
	s_wait_xcnt 0x0
	s_bfe_u32 s0, ttmp6, 0x40014
	s_lshr_b32 s2, ttmp7, 16
	s_add_co_i32 s0, s0, 1
	s_bfe_u32 s8, ttmp6, 0x40008
	s_mul_i32 s0, s2, s0
	v_mov_b32_e32 v2, 0
	s_add_co_i32 s8, s8, s0
	s_delay_alu instid0(VALU_DEP_1)
	v_dual_mov_b32 v3, v2 :: v_dual_mov_b32 v4, v2
	v_mov_b32_e32 v5, v2
	s_wait_kmcnt 0x0
	s_ashr_i32 s1, s6, 31
	s_cmp_eq_u32 s3, 0
	v_mad_u32 v0, v1, s7, v0
	s_cselect_b32 s0, s2, s8
	s_load_b64 s[2:3], s[4:5], s0 offset:0x0 scale_offset
	s_wait_xcnt 0x0
	s_mov_b32 s0, s6
	s_delay_alu instid0(SALU_CYCLE_1)
	s_lshl_b64 s[0:1], s[0:1], 4
	s_wait_kmcnt 0x0
	s_add_nc_u64 s[0:1], s[2:3], s[0:1]
	flat_store_b128 v0, v[2:5], s[0:1] scale_offset
.LBB67_12:
	s_endpgm
	.section	.rodata,"a",@progbits
	.p2align	6, 0x0
	.amdhsa_kernel _ZN9rocsolver6v33100L8set_zeroI19rocblas_complex_numIdEPKPS3_EEviiT0_iil13rocblas_fill_
		.amdhsa_group_segment_fixed_size 0
		.amdhsa_private_segment_fixed_size 0
		.amdhsa_kernarg_size 296
		.amdhsa_user_sgpr_count 2
		.amdhsa_user_sgpr_dispatch_ptr 0
		.amdhsa_user_sgpr_queue_ptr 0
		.amdhsa_user_sgpr_kernarg_segment_ptr 1
		.amdhsa_user_sgpr_dispatch_id 0
		.amdhsa_user_sgpr_kernarg_preload_length 0
		.amdhsa_user_sgpr_kernarg_preload_offset 0
		.amdhsa_user_sgpr_private_segment_size 0
		.amdhsa_wavefront_size32 1
		.amdhsa_uses_dynamic_stack 0
		.amdhsa_enable_private_segment 0
		.amdhsa_system_sgpr_workgroup_id_x 1
		.amdhsa_system_sgpr_workgroup_id_y 1
		.amdhsa_system_sgpr_workgroup_id_z 1
		.amdhsa_system_sgpr_workgroup_info 0
		.amdhsa_system_vgpr_workitem_id 1
		.amdhsa_next_free_vgpr 6
		.amdhsa_next_free_sgpr 11
		.amdhsa_named_barrier_count 0
		.amdhsa_reserve_vcc 1
		.amdhsa_float_round_mode_32 0
		.amdhsa_float_round_mode_16_64 0
		.amdhsa_float_denorm_mode_32 3
		.amdhsa_float_denorm_mode_16_64 3
		.amdhsa_fp16_overflow 0
		.amdhsa_memory_ordered 1
		.amdhsa_forward_progress 1
		.amdhsa_inst_pref_size 4
		.amdhsa_round_robin_scheduling 0
		.amdhsa_exception_fp_ieee_invalid_op 0
		.amdhsa_exception_fp_denorm_src 0
		.amdhsa_exception_fp_ieee_div_zero 0
		.amdhsa_exception_fp_ieee_overflow 0
		.amdhsa_exception_fp_ieee_underflow 0
		.amdhsa_exception_fp_ieee_inexact 0
		.amdhsa_exception_int_div_zero 0
	.end_amdhsa_kernel
	.section	.text._ZN9rocsolver6v33100L8set_zeroI19rocblas_complex_numIdEPKPS3_EEviiT0_iil13rocblas_fill_,"axG",@progbits,_ZN9rocsolver6v33100L8set_zeroI19rocblas_complex_numIdEPKPS3_EEviiT0_iil13rocblas_fill_,comdat
.Lfunc_end67:
	.size	_ZN9rocsolver6v33100L8set_zeroI19rocblas_complex_numIdEPKPS3_EEviiT0_iil13rocblas_fill_, .Lfunc_end67-_ZN9rocsolver6v33100L8set_zeroI19rocblas_complex_numIdEPKPS3_EEviiT0_iil13rocblas_fill_
                                        ; -- End function
	.set _ZN9rocsolver6v33100L8set_zeroI19rocblas_complex_numIdEPKPS3_EEviiT0_iil13rocblas_fill_.num_vgpr, 6
	.set _ZN9rocsolver6v33100L8set_zeroI19rocblas_complex_numIdEPKPS3_EEviiT0_iil13rocblas_fill_.num_agpr, 0
	.set _ZN9rocsolver6v33100L8set_zeroI19rocblas_complex_numIdEPKPS3_EEviiT0_iil13rocblas_fill_.numbered_sgpr, 11
	.set _ZN9rocsolver6v33100L8set_zeroI19rocblas_complex_numIdEPKPS3_EEviiT0_iil13rocblas_fill_.num_named_barrier, 0
	.set _ZN9rocsolver6v33100L8set_zeroI19rocblas_complex_numIdEPKPS3_EEviiT0_iil13rocblas_fill_.private_seg_size, 0
	.set _ZN9rocsolver6v33100L8set_zeroI19rocblas_complex_numIdEPKPS3_EEviiT0_iil13rocblas_fill_.uses_vcc, 1
	.set _ZN9rocsolver6v33100L8set_zeroI19rocblas_complex_numIdEPKPS3_EEviiT0_iil13rocblas_fill_.uses_flat_scratch, 0
	.set _ZN9rocsolver6v33100L8set_zeroI19rocblas_complex_numIdEPKPS3_EEviiT0_iil13rocblas_fill_.has_dyn_sized_stack, 0
	.set _ZN9rocsolver6v33100L8set_zeroI19rocblas_complex_numIdEPKPS3_EEviiT0_iil13rocblas_fill_.has_recursion, 0
	.set _ZN9rocsolver6v33100L8set_zeroI19rocblas_complex_numIdEPKPS3_EEviiT0_iil13rocblas_fill_.has_indirect_call, 0
	.section	.AMDGPU.csdata,"",@progbits
; Kernel info:
; codeLenInByte = 452
; TotalNumSgprs: 13
; NumVgprs: 6
; ScratchSize: 0
; MemoryBound: 0
; FloatMode: 240
; IeeeMode: 1
; LDSByteSize: 0 bytes/workgroup (compile time only)
; SGPRBlocks: 0
; VGPRBlocks: 0
; NumSGPRsForWavesPerEU: 13
; NumVGPRsForWavesPerEU: 6
; NamedBarCnt: 0
; Occupancy: 16
; WaveLimiterHint : 1
; COMPUTE_PGM_RSRC2:SCRATCH_EN: 0
; COMPUTE_PGM_RSRC2:USER_SGPR: 2
; COMPUTE_PGM_RSRC2:TRAP_HANDLER: 0
; COMPUTE_PGM_RSRC2:TGID_X_EN: 1
; COMPUTE_PGM_RSRC2:TGID_Y_EN: 1
; COMPUTE_PGM_RSRC2:TGID_Z_EN: 1
; COMPUTE_PGM_RSRC2:TIDIG_COMP_CNT: 1
	.section	.text._ZN9rocsolver6v33100L18geqr2_kernel_smallILi256E19rocblas_complex_numIdEidPKPS3_EEvT1_S7_T3_lS7_lPT2_lPT0_l,"axG",@progbits,_ZN9rocsolver6v33100L18geqr2_kernel_smallILi256E19rocblas_complex_numIdEidPKPS3_EEvT1_S7_T3_lS7_lPT2_lPT0_l,comdat
	.globl	_ZN9rocsolver6v33100L18geqr2_kernel_smallILi256E19rocblas_complex_numIdEidPKPS3_EEvT1_S7_T3_lS7_lPT2_lPT0_l ; -- Begin function _ZN9rocsolver6v33100L18geqr2_kernel_smallILi256E19rocblas_complex_numIdEidPKPS3_EEvT1_S7_T3_lS7_lPT2_lPT0_l
	.p2align	8
	.type	_ZN9rocsolver6v33100L18geqr2_kernel_smallILi256E19rocblas_complex_numIdEidPKPS3_EEvT1_S7_T3_lS7_lPT2_lPT0_l,@function
_ZN9rocsolver6v33100L18geqr2_kernel_smallILi256E19rocblas_complex_numIdEidPKPS3_EEvT1_S7_T3_lS7_lPT2_lPT0_l: ; @_ZN9rocsolver6v33100L18geqr2_kernel_smallILi256E19rocblas_complex_numIdEidPKPS3_EEvT1_S7_T3_lS7_lPT2_lPT0_l
; %bb.0:
	s_clause 0x1
	s_load_b128 s[4:7], s[0:1], 0x8
	s_load_b64 s[12:13], s[0:1], 0x0
	s_bfe_u32 s2, ttmp6, 0x40014
	s_lshr_b32 s3, ttmp7, 16
	s_add_co_i32 s2, s2, 1
	s_bfe_u32 s8, ttmp6, 0x40008
	s_mul_i32 s2, s3, s2
	s_getreg_b32 s9, hwreg(HW_REG_IB_STS2, 6, 4)
	s_add_co_i32 s8, s8, s2
	s_cmp_eq_u32 s9, 0
	v_and_b32_e32 v1, 0x7f, v0
	s_cselect_b32 s18, s3, s8
	v_lshrrev_b32_e32 v16, 7, v0
	s_mov_b32 s19, 0
	s_wait_kmcnt 0x0
	s_load_b64 s[8:9], s[4:5], s18 offset:0x0 scale_offset
	s_load_b32 s20, s[0:1], 0x18
	v_cmp_gt_i32_e64 s2, s12, v1
	v_lshlrev_b32_e32 v17, 4, v1
	s_wait_xcnt 0x0
	s_lshl_b64 s[4:5], s[6:7], 4
	s_wait_kmcnt 0x0
	s_add_nc_u64 s[14:15], s[8:9], s[4:5]
	s_and_saveexec_b32 s4, s2
	s_cbranch_execz .LBB68_6
; %bb.1:
	v_dual_mov_b32 v5, v1 :: v_dual_lshrrev_b32 v2, 7, v0
	s_lshl_b32 s5, s12, 5
	s_lshl_b32 s6, s20, 1
	s_mov_b32 s7, s19
	s_delay_alu instid0(VALU_DEP_1) | instskip(SKIP_2) | instid1(VALU_DEP_3)
	v_mul_lo_u32 v4, s12, v2
	v_mad_u32 v3, s20, v2, v1
	v_cmp_gt_i32_e32 vcc_lo, s13, v2
	v_lshlrev_b32_e32 v4, 4, v4
	s_delay_alu instid0(VALU_DEP_1)
	v_add3_u32 v4, v4, v17, 0
	s_branch .LBB68_3
.LBB68_2:                               ;   in Loop: Header=BB68_3 Depth=1
	s_or_b32 exec_lo, exec_lo, s8
	v_add_nc_u32_e32 v5, 0x80, v5
	v_add_nc_u32_e32 v4, 0x800, v4
	;; [unrolled: 1-line block ×3, first 2 shown]
	s_delay_alu instid0(VALU_DEP_3) | instskip(SKIP_1) | instid1(SALU_CYCLE_1)
	v_cmp_le_i32_e64 s3, s12, v5
	s_or_b32 s7, s3, s7
	s_and_not1_b32 exec_lo, exec_lo, s7
	s_cbranch_execz .LBB68_6
.LBB68_3:                               ; =>This Loop Header: Depth=1
                                        ;     Child Loop BB68_5 Depth 2
	s_and_saveexec_b32 s8, vcc_lo
	s_cbranch_execz .LBB68_2
; %bb.4:                                ;   in Loop: Header=BB68_3 Depth=1
	s_delay_alu instid0(VALU_DEP_1)
	v_dual_mov_b32 v6, v3 :: v_dual_mov_b32 v7, v4
	v_mov_b32_e32 v8, v2
	s_mov_b32 s9, 0
.LBB68_5:                               ;   Parent Loop BB68_3 Depth=1
                                        ; =>  This Inner Loop Header: Depth=2
	flat_load_b128 v[10:13], v6, s[14:15] scale_offset
	s_wait_xcnt 0x0
	v_dual_add_nc_u32 v8, 2, v8 :: v_dual_add_nc_u32 v6, s6, v6
	s_delay_alu instid0(VALU_DEP_1)
	v_cmp_le_i32_e64 s3, s13, v8
	s_or_b32 s9, s3, s9
	s_wait_loadcnt_dscnt 0x0
	ds_store_2addr_b64 v7, v[10:11], v[12:13] offset1:1
	v_add_nc_u32_e32 v7, s5, v7
	s_and_not1_b32 exec_lo, exec_lo, s9
	s_cbranch_execnz .LBB68_5
	s_branch .LBB68_2
.LBB68_6:
	s_or_b32 exec_lo, exec_lo, s4
	s_min_i32 s21, s13, s12
	s_wait_dscnt 0x0
	s_cmp_lt_i32 s21, 1
	s_barrier_signal -1
	s_barrier_wait -1
	s_cbranch_scc1 .LBB68_43
; %bb.7:
	v_mbcnt_lo_u32_b32 v2, -1, 0
	s_load_b256 s[4:11], s[0:1], 0x28
	s_wait_xcnt 0x0
	s_mul_i32 s0, s13, s12
	s_lshl_b32 s1, s13, 4
	s_lshl_b32 s0, s0, 4
	v_cmp_ne_u32_e32 vcc_lo, 31, v2
	s_add_co_i32 s22, s0, 0
	v_lshl_or_b32 v22, v2, 2, 64
	v_and_b32_e32 v3, 31, v0
	s_add_co_i32 s23, s22, s1
	v_add_co_ci_u32_e64 v4, null, 0, v2, vcc_lo
	v_cmp_gt_u32_e32 vcc_lo, 30, v2
	s_mov_b32 s17, 0
	s_mov_b32 s26, 0
	s_delay_alu instid0(VALU_DEP_2)
	v_lshlrev_b32_e32 v18, 2, v4
	v_lshlrev_b32_e32 v4, 4, v0
	v_cndmask_b32_e64 v5, 0, 2, vcc_lo
	v_cmp_gt_u32_e32 vcc_lo, 28, v2
	s_mov_b32 s27, s13
	s_mov_b32 s28, s12
	s_wait_kmcnt 0x0
	s_mul_u64 s[0:1], s[6:7], s[18:19]
	v_add_lshl_u32 v19, v5, v2, 2
	v_cndmask_b32_e64 v6, 0, 4, vcc_lo
	v_cmp_gt_u32_e32 vcc_lo, 24, v2
	s_mul_u64 s[6:7], s[10:11], s[18:19]
	s_lshl_b64 s[0:1], s[0:1], 3
	s_lshl_b64 s[6:7], s[6:7], 4
	v_add_lshl_u32 v20, v6, v2, 2
	v_cndmask_b32_e64 v7, 0, 8, vcc_lo
	s_cmp_eq_u64 s[4:5], 0
	s_add_nc_u64 s[10:11], s[4:5], s[0:1]
	v_cmp_eq_u32_e64 s0, 0, v3
	v_lshrrev_b32_e32 v3, 1, v0
	v_add_lshl_u32 v21, v7, v2, 2
	v_mad_u32 v2, s12, v0, s12
	s_add_nc_u64 s[8:9], s[8:9], s[6:7]
	s_cselect_b32 s7, -1, 0
	s_cmp_lg_u64 s[4:5], 0
	v_cmp_eq_u32_e64 s1, 0, v0
	s_cselect_b32 s18, -1, 0
	s_lshl_b32 s19, s12, 4
	v_add3_u32 v23, v4, 0, 16
	v_add3_u32 v25, 0, s19, v4
	s_add_co_i32 s24, s19, 16
	s_lshl_b32 s25, s12, 12
	v_lshl_add_u32 v24, v2, 4, 0
	v_dual_mov_b32 v2, 0 :: v_dual_add_nc_u32 v26, s23, v3
	s_mov_b32 s16, s17
	s_branch .LBB68_9
.LBB68_8:                               ;   in Loop: Header=BB68_9 Depth=1
	s_or_b32 exec_lo, exec_lo, s4
	v_dual_add_nc_u32 v23, s24, v23 :: v_dual_add_nc_u32 v24, s24, v24
	v_add_nc_u32_e32 v25, s24, v25
	s_add_co_i32 s16, s16, 1
	s_add_co_i32 s27, s27, -1
	s_add_co_i32 s28, s28, -1
	s_add_co_i32 s26, s26, s24
	s_cmp_eq_u32 s16, s21
	s_wait_dscnt 0x0
	s_barrier_signal -1
	s_barrier_wait -1
	s_cbranch_scc1 .LBB68_43
.LBB68_9:                               ; =>This Loop Header: Depth=1
                                        ;     Child Loop BB68_11 Depth 2
                                        ;     Child Loop BB68_28 Depth 2
                                        ;     Child Loop BB68_32 Depth 2
                                        ;       Child Loop BB68_34 Depth 3
                                        ;     Child Loop BB68_38 Depth 2
                                        ;       Child Loop BB68_40 Depth 3
	s_sub_co_i32 s29, s12, s16
	v_mov_b64_e32 v[4:5], 0
	s_add_co_i32 s31, s29, -1
	v_mov_b64_e32 v[6:7], 0
	v_cmp_gt_i32_e64 s3, s31, v0
	s_and_saveexec_b32 s4, s3
	s_cbranch_execz .LBB68_13
; %bb.10:                               ;   in Loop: Header=BB68_9 Depth=1
	v_mov_b64_e32 v[4:5], 0
	v_mov_b64_e32 v[6:7], 0
	v_dual_mov_b32 v3, v23 :: v_dual_mov_b32 v8, v0
	s_mov_b32 s5, 0
.LBB68_11:                              ;   Parent Loop BB68_9 Depth=1
                                        ; =>  This Inner Loop Header: Depth=2
	ds_load_2addr_b64 v[10:13], v3 offset1:1
	v_add_nc_u32_e32 v8, 0x100, v8
	v_add_nc_u32_e32 v3, 0x1000, v3
	s_delay_alu instid0(VALU_DEP_2) | instskip(SKIP_4) | instid1(VALU_DEP_2)
	v_cmp_le_i32_e32 vcc_lo, s31, v8
	s_or_b32 s5, vcc_lo, s5
	s_wait_dscnt 0x0
	v_mul_f64_e32 v[14:15], v[12:13], v[12:13]
	v_mul_f64_e32 v[28:29], v[10:11], v[12:13]
	v_fmac_f64_e32 v[14:15], v[10:11], v[10:11]
	s_delay_alu instid0(VALU_DEP_2) | instskip(NEXT) | instid1(VALU_DEP_2)
	v_fma_f64 v[10:11], v[10:11], v[12:13], -v[28:29]
	v_add_f64_e32 v[6:7], v[6:7], v[14:15]
	s_delay_alu instid0(VALU_DEP_2)
	v_add_f64_e32 v[4:5], v[4:5], v[10:11]
	s_and_not1_b32 exec_lo, exec_lo, s5
	s_cbranch_execnz .LBB68_11
; %bb.12:                               ;   in Loop: Header=BB68_9 Depth=1
	s_or_b32 exec_lo, exec_lo, s5
.LBB68_13:                              ;   in Loop: Header=BB68_9 Depth=1
	s_delay_alu instid0(SALU_CYCLE_1)
	s_or_b32 exec_lo, exec_lo, s4
	ds_bpermute_b32 v8, v18, v6
	ds_bpermute_b32 v9, v18, v7
	s_wait_dscnt 0x0
	v_add_f64_e32 v[6:7], v[6:7], v[8:9]
	ds_bpermute_b32 v8, v18, v4
	ds_bpermute_b32 v9, v18, v5
	s_wait_dscnt 0x0
	v_add_f64_e32 v[4:5], v[4:5], v[8:9]
	;; [unrolled: 4-line block ×9, first 2 shown]
	ds_bpermute_b32 v8, v22, v6
	ds_bpermute_b32 v9, v22, v7
	s_and_saveexec_b32 s4, s0
	s_cbranch_execz .LBB68_15
; %bb.14:                               ;   in Loop: Header=BB68_9 Depth=1
	s_wait_dscnt 0x0
	v_add_f64_e32 v[6:7], v[6:7], v[8:9]
	ds_store_2addr_b64 v26, v[4:5], v[6:7] offset0:2 offset1:3
.LBB68_15:                              ;   in Loop: Header=BB68_9 Depth=1
	s_or_b32 exec_lo, exec_lo, s4
	s_lshl_b32 s4, s16, 4
	s_mul_i32 s5, s16, s12
	s_add_co_i32 s30, s4, 0
	s_lshl_b32 s4, s5, 4
	s_wait_dscnt 0x0
	s_add_co_i32 s30, s30, s4
	s_barrier_signal -1
	s_barrier_wait -1
	s_and_saveexec_b32 s33, s1
	s_cbranch_execz .LBB68_26
; %bb.16:                               ;   in Loop: Header=BB68_9 Depth=1
	v_mov_b32_e32 v3, s23
	s_mov_b32 s4, 0
	s_mov_b32 s34, 0
	s_mov_b32 s5, exec_lo
	ds_load_2addr_b64 v[6:9], v3 offset0:4 offset1:6
	s_wait_dscnt 0x0
	v_add_f64_e32 v[4:5], v[4:5], v[6:7]
	s_delay_alu instid0(VALU_DEP_1) | instskip(SKIP_3) | instid1(VALU_DEP_1)
	v_add_f64_e32 v[8:9], v[4:5], v[8:9]
	ds_load_2addr_b64 v[4:7], v3 offset0:8 offset1:10
	s_wait_dscnt 0x0
	v_add_f64_e32 v[4:5], v[8:9], v[4:5]
	v_add_f64_e32 v[8:9], v[4:5], v[6:7]
	ds_load_2addr_b64 v[4:7], v3 offset0:12 offset1:14
	s_wait_dscnt 0x0
	v_dual_add_f64 v[4:5], v[8:9], v[4:5] :: v_dual_mov_b32 v8, s30
	s_delay_alu instid0(VALU_DEP_1)
	v_add_f64_e32 v[4:5], v[4:5], v[6:7]
	ds_load_b64 v[6:7], v3 offset:128
	ds_load_b64 v[8:9], v8 offset:8
	s_wait_dscnt 0x1
	v_add_f64_e32 v[14:15], v[4:5], v[6:7]
	s_wait_dscnt 0x0
	v_mul_f64_e32 v[6:7], v[8:9], v[8:9]
	s_delay_alu instid0(VALU_DEP_1) | instskip(NEXT) | instid1(VALU_DEP_1)
	v_max_num_f64_e32 v[4:5], v[14:15], v[6:7]
	v_cmpx_nlt_f64_e32 0, v[4:5]
	s_xor_b32 s5, exec_lo, s5
                                        ; implicit-def: $vgpr4_vgpr5
	s_cbranch_execz .LBB68_21
; %bb.17:                               ;   in Loop: Header=BB68_9 Depth=1
	s_mov_b32 s34, s17
	s_mov_b32 s35, s17
	;; [unrolled: 1-line block ×4, first 2 shown]
	v_mov_b64_e32 v[4:5], s[34:35]
	v_mov_b64_e32 v[6:7], s[36:37]
	v_mov_b32_e32 v3, s23
	s_and_b32 vcc_lo, exec_lo, s18
	ds_store_2addr_b64 v3, v[4:5], v[6:7] offset1:1
	s_cbranch_vccz .LBB68_19
; %bb.18:                               ;   in Loop: Header=BB68_9 Depth=1
	v_mov_b32_e32 v3, s30
	s_mov_b32 s6, -1
	ds_load_b64 v[4:5], v3
	s_branch .LBB68_20
.LBB68_19:                              ;   in Loop: Header=BB68_9 Depth=1
	s_mov_b32 s6, 0
                                        ; implicit-def: $vgpr4_vgpr5
.LBB68_20:                              ;   in Loop: Header=BB68_9 Depth=1
	s_delay_alu instid0(SALU_CYCLE_1)
	s_and_b32 s34, s6, exec_lo
                                        ; implicit-def: $vgpr6_vgpr7
                                        ; implicit-def: $vgpr14_vgpr15
                                        ; implicit-def: $vgpr8_vgpr9
.LBB68_21:                              ;   in Loop: Header=BB68_9 Depth=1
	s_or_saveexec_b32 s35, s5
	v_mov_b64_e32 v[10:11], 1.0
	v_mov_b64_e32 v[12:13], 0
	s_xor_b32 exec_lo, exec_lo, s35
	s_cbranch_execnz .LBB68_41
; %bb.22:                               ;   in Loop: Header=BB68_9 Depth=1
	s_or_b32 exec_lo, exec_lo, s35
	s_and_saveexec_b32 s5, s34
	s_cbranch_execnz .LBB68_42
.LBB68_23:                              ;   in Loop: Header=BB68_9 Depth=1
	s_or_b32 exec_lo, exec_lo, s5
	v_mov_b64_e32 v[6:7], 0
	s_and_saveexec_b32 s5, s4
	s_cbranch_execz .LBB68_25
.LBB68_24:                              ;   in Loop: Header=BB68_9 Depth=1
	v_dual_mov_b32 v3, v2 :: v_dual_mov_b32 v6, s30
	v_mov_b32_e32 v7, s23
	s_wait_dscnt 0x0
	ds_store_2addr_b64 v6, v[4:5], v[2:3] offset1:1
	ds_load_b64 v[6:7], v7 offset:8
.LBB68_25:                              ;   in Loop: Header=BB68_9 Depth=1
	s_or_b32 exec_lo, exec_lo, s5
	v_mov_b32_e32 v3, s23
	s_lshl_b64 s[4:5], s[16:17], 4
	s_wait_dscnt 0x0
	v_xor_b32_e32 v7, 0x80000000, v7
	s_add_nc_u64 s[4:5], s[8:9], s[4:5]
	ds_load_2addr_b64 v[28:31], v3 offset1:1
	s_wait_dscnt 0x0
	global_store_b128 v2, v[28:31], s[4:5]
	ds_store_b64 v3, v[12:13] offset:24
	ds_store_2addr_b64 v3, v[6:7], v[10:11] offset0:1 offset1:2
.LBB68_26:                              ;   in Loop: Header=BB68_9 Depth=1
	s_wait_xcnt 0x0
	s_or_b32 exec_lo, exec_lo, s33
	s_wait_storecnt_dscnt 0x0
	s_barrier_signal -1
	s_barrier_wait -1
	s_and_saveexec_b32 s4, s3
	s_cbranch_execz .LBB68_29
; %bb.27:                               ;   in Loop: Header=BB68_9 Depth=1
	v_mov_b32_e32 v3, v0
	s_mov_b32 s3, 0
	s_mov_b32 s5, 0
.LBB68_28:                              ;   Parent Loop BB68_9 Depth=1
                                        ; =>  This Inner Loop Header: Depth=2
	s_delay_alu instid0(SALU_CYCLE_1) | instskip(NEXT) | instid1(VALU_DEP_2)
	v_dual_mov_b32 v4, s23 :: v_dual_add_nc_u32 v14, s5, v23
	v_add_nc_u32_e32 v3, 0x100, v3
	s_addk_co_i32 s5, 0x1000
	ds_load_2addr_b64 v[4:7], v4 offset0:2 offset1:3
	ds_load_2addr_b64 v[8:11], v14 offset1:1
	v_cmp_le_i32_e32 vcc_lo, s31, v3
	s_or_b32 s3, vcc_lo, s3
	s_wait_dscnt 0x0
	v_mul_f64_e32 v[12:13], v[6:7], v[10:11]
	v_mul_f64_e32 v[10:11], v[4:5], v[10:11]
	s_delay_alu instid0(VALU_DEP_2) | instskip(NEXT) | instid1(VALU_DEP_2)
	v_fma_f64 v[4:5], v[4:5], v[8:9], -v[12:13]
	v_fmac_f64_e32 v[10:11], v[6:7], v[8:9]
	ds_store_2addr_b64 v14, v[4:5], v[10:11] offset1:1
	s_and_not1_b32 exec_lo, exec_lo, s3
	s_cbranch_execnz .LBB68_28
.LBB68_29:                              ;   in Loop: Header=BB68_9 Depth=1
	s_or_b32 exec_lo, exec_lo, s4
	s_not_b32 s3, s16
	s_mov_b32 s4, exec_lo
	s_add_co_i32 s3, s13, s3
	s_wait_dscnt 0x0
	s_barrier_signal -1
	s_barrier_wait -1
	v_cmpx_gt_i32_e64 s3, v0
	s_cbranch_execz .LBB68_35
; %bb.30:                               ;   in Loop: Header=BB68_9 Depth=1
	v_dual_mov_b32 v3, v24 :: v_dual_mov_b32 v8, v0
	s_cmp_gt_i32 s29, 0
	s_mov_b32 s5, 0
	s_cselect_b32 s6, -1, 0
	s_branch .LBB68_32
.LBB68_31:                              ;   in Loop: Header=BB68_32 Depth=2
	v_dual_mov_b32 v9, s23 :: v_dual_add_nc_u32 v3, s25, v3
	ds_load_2addr_b64 v[10:13], v9 offset1:1
	s_wait_dscnt 0x0
	v_mul_f64_e32 v[14:15], v[4:5], v[12:13]
	v_mul_f64_e32 v[12:13], v[6:7], v[12:13]
	s_delay_alu instid0(VALU_DEP_2) | instskip(NEXT) | instid1(VALU_DEP_2)
	v_fma_f64 v[6:7], v[6:7], v[10:11], -v[14:15]
	v_fmac_f64_e32 v[12:13], v[4:5], v[10:11]
	v_lshl_add_u32 v4, v8, 4, s22
	v_add_nc_u32_e32 v8, 0x100, v8
	s_delay_alu instid0(VALU_DEP_1)
	v_cmp_le_i32_e32 vcc_lo, s3, v8
	s_or_b32 s5, vcc_lo, s5
	ds_store_2addr_b64 v4, v[6:7], v[12:13] offset1:1
	s_and_not1_b32 exec_lo, exec_lo, s5
	s_cbranch_execz .LBB68_35
.LBB68_32:                              ;   Parent Loop BB68_9 Depth=1
                                        ; =>  This Loop Header: Depth=2
                                        ;       Child Loop BB68_34 Depth 3
	v_mov_b64_e32 v[4:5], 0
	v_mov_b64_e32 v[6:7], 0
	s_and_not1_b32 vcc_lo, exec_lo, s6
	s_cbranch_vccnz .LBB68_31
; %bb.33:                               ;   in Loop: Header=BB68_32 Depth=2
	v_mov_b32_e32 v9, v3
	s_mov_b32 s31, s26
	s_mov_b32 s33, s28
.LBB68_34:                              ;   Parent Loop BB68_9 Depth=1
                                        ;     Parent Loop BB68_32 Depth=2
                                        ; =>    This Inner Loop Header: Depth=3
	v_mov_b32_e32 v14, s31
	s_add_co_i32 s33, s33, -1
	s_add_co_i32 s31, s31, 16
	s_cmp_eq_u32 s33, 0
	ds_load_2addr_b64 v[10:13], v9 offset1:1
	ds_load_2addr_b64 v[28:31], v14 offset1:1
	v_add_nc_u32_e32 v9, 16, v9
	s_wait_dscnt 0x0
	v_mul_f64_e32 v[14:15], v[30:31], v[12:13]
	v_mul_f64_e32 v[30:31], v[30:31], v[10:11]
	s_delay_alu instid0(VALU_DEP_2) | instskip(NEXT) | instid1(VALU_DEP_2)
	v_fmac_f64_e32 v[14:15], v[28:29], v[10:11]
	v_fma_f64 v[10:11], v[28:29], v[12:13], -v[30:31]
	s_delay_alu instid0(VALU_DEP_2) | instskip(NEXT) | instid1(VALU_DEP_2)
	v_add_f64_e32 v[6:7], v[6:7], v[14:15]
	v_add_f64_e32 v[4:5], v[4:5], v[10:11]
	s_cbranch_scc0 .LBB68_34
	s_branch .LBB68_31
.LBB68_35:                              ;   in Loop: Header=BB68_9 Depth=1
	s_or_b32 exec_lo, exec_lo, s4
	s_delay_alu instid0(SALU_CYCLE_1)
	s_mov_b32 s4, exec_lo
	s_wait_dscnt 0x0
	s_barrier_signal -1
	s_barrier_wait -1
	v_cmpx_gt_i32_e64 s29, v0
	s_cbranch_execz .LBB68_8
; %bb.36:                               ;   in Loop: Header=BB68_9 Depth=1
	v_dual_mov_b32 v3, v25 :: v_dual_mov_b32 v4, v0
	s_cmp_gt_i32 s3, 0
	s_mov_b32 s3, 0
	s_cselect_b32 s5, -1, 0
	s_branch .LBB68_38
.LBB68_37:                              ;   in Loop: Header=BB68_38 Depth=2
	v_add_nc_u32_e32 v4, 0x100, v4
	v_add_nc_u32_e32 v3, 0x1000, v3
	s_delay_alu instid0(VALU_DEP_2) | instskip(SKIP_1) | instid1(SALU_CYCLE_1)
	v_cmp_le_i32_e32 vcc_lo, s29, v4
	s_or_b32 s3, vcc_lo, s3
	s_and_not1_b32 exec_lo, exec_lo, s3
	s_cbranch_execz .LBB68_8
.LBB68_38:                              ;   Parent Loop BB68_9 Depth=1
                                        ; =>  This Loop Header: Depth=2
                                        ;       Child Loop BB68_40 Depth 3
	s_and_not1_b32 vcc_lo, exec_lo, s5
	s_cbranch_vccnz .LBB68_37
; %bb.39:                               ;   in Loop: Header=BB68_38 Depth=2
	v_lshl_add_u32 v5, v4, 4, s30
	v_mov_b32_e32 v6, v3
	s_mov_b32 s6, 1
	s_mov_b32 s31, s22
.LBB68_40:                              ;   Parent Loop BB68_9 Depth=1
                                        ;     Parent Loop BB68_38 Depth=2
                                        ; =>    This Inner Loop Header: Depth=3
	s_delay_alu instid0(SALU_CYCLE_1)
	v_mov_b32_e32 v7, s31
	s_add_co_i32 s6, s6, 1
	s_add_co_i32 s31, s31, 16
	s_cmp_eq_u32 s27, s6
	ds_load_2addr_b64 v[8:11], v5 offset1:1
	ds_load_2addr_b64 v[12:15], v7 offset1:1
	s_wait_dscnt 0x0
	v_mul_f64_e32 v[28:29], v[14:15], v[10:11]
	v_mul_f64_e32 v[30:31], v[12:13], v[10:11]
	s_delay_alu instid0(VALU_DEP_2) | instskip(NEXT) | instid1(VALU_DEP_2)
	v_fma_f64 v[12:13], v[12:13], v[8:9], -v[28:29]
	v_fmac_f64_e32 v[30:31], v[14:15], v[8:9]
	ds_load_2addr_b64 v[8:11], v6 offset1:1
	s_wait_dscnt 0x0
	v_add_f64_e64 v[8:9], v[8:9], -v[12:13]
	v_add_f64_e64 v[10:11], v[10:11], -v[30:31]
	ds_store_2addr_b64 v6, v[8:9], v[10:11] offset1:1
	v_add_nc_u32_e32 v6, s19, v6
	s_cbranch_scc0 .LBB68_40
	s_branch .LBB68_37
.LBB68_41:                              ;   in Loop: Header=BB68_9 Depth=1
	v_mov_b32_e32 v3, s30
	ds_load_b64 v[10:11], v3
	s_wait_dscnt 0x0
	v_fma_f64 v[4:5], v[10:11], v[10:11], v[6:7]
	s_delay_alu instid0(VALU_DEP_1) | instskip(NEXT) | instid1(VALU_DEP_1)
	v_add_f64_e32 v[4:5], v[14:15], v[4:5]
	v_cmp_gt_f64_e32 vcc_lo, 0x10000000, v[4:5]
	v_cndmask_b32_e64 v3, 0, 0x100, vcc_lo
	s_delay_alu instid0(VALU_DEP_1) | instskip(SKIP_1) | instid1(VALU_DEP_2)
	v_ldexp_f64 v[4:5], v[4:5], v3
	v_cndmask_b32_e64 v3, 0, 0xffffff80, vcc_lo
	v_rsq_f64_e32 v[12:13], v[4:5]
	v_cmp_class_f64_e64 vcc_lo, v[4:5], 0x260
	s_delay_alu instid0(TRANS32_DEP_1) | instskip(SKIP_1) | instid1(VALU_DEP_1)
	v_mul_f64_e32 v[14:15], v[4:5], v[12:13]
	v_mul_f64_e32 v[12:13], 0.5, v[12:13]
	v_fma_f64 v[28:29], -v[12:13], v[14:15], 0.5
	s_delay_alu instid0(VALU_DEP_1) | instskip(SKIP_1) | instid1(VALU_DEP_2)
	v_fmac_f64_e32 v[14:15], v[14:15], v[28:29]
	v_fmac_f64_e32 v[12:13], v[12:13], v[28:29]
	v_fma_f64 v[28:29], -v[14:15], v[14:15], v[4:5]
	s_delay_alu instid0(VALU_DEP_1) | instskip(NEXT) | instid1(VALU_DEP_1)
	v_fmac_f64_e32 v[14:15], v[28:29], v[12:13]
	v_fma_f64 v[28:29], -v[14:15], v[14:15], v[4:5]
	s_delay_alu instid0(VALU_DEP_1) | instskip(NEXT) | instid1(VALU_DEP_1)
	v_fmac_f64_e32 v[14:15], v[28:29], v[12:13]
	v_ldexp_f64 v[12:13], v[14:15], v3
	s_delay_alu instid0(VALU_DEP_1) | instskip(SKIP_1) | instid1(VALU_DEP_2)
	v_dual_cndmask_b32 v4, v12, v4 :: v_dual_cndmask_b32 v3, v13, v5
	v_cmp_le_f64_e32 vcc_lo, 0, v[10:11]
	v_xor_b32_e32 v5, 0x80000000, v3
	s_delay_alu instid0(VALU_DEP_1) | instskip(NEXT) | instid1(VALU_DEP_1)
	v_dual_cndmask_b32 v5, v3, v5, vcc_lo :: v_dual_mov_b32 v3, s23
	v_add_f64_e64 v[12:13], v[10:11], -v[4:5]
	v_add_f64_e64 v[14:15], v[4:5], -v[10:11]
	s_delay_alu instid0(VALU_DEP_2) | instskip(NEXT) | instid1(VALU_DEP_2)
	v_fmac_f64_e32 v[6:7], v[12:13], v[12:13]
	v_div_scale_f64 v[30:31], null, v[4:5], v[4:5], v[14:15]
	s_delay_alu instid0(VALU_DEP_2) | instskip(NEXT) | instid1(VALU_DEP_2)
	v_div_scale_f64 v[28:29], null, v[6:7], v[6:7], -v[8:9]
	v_rcp_f64_e32 v[38:39], v[30:31]
	v_div_scale_f64 v[10:11], null, v[6:7], v[6:7], v[12:13]
	v_div_scale_f64 v[50:51], vcc_lo, v[12:13], v[6:7], v[12:13]
	s_delay_alu instid0(VALU_DEP_3) | instskip(NEXT) | instid1(VALU_DEP_2)
	v_rcp_f64_e32 v[36:37], v[28:29]
	v_rcp_f64_e32 v[34:35], v[10:11]
	s_delay_alu instid0(TRANS32_DEP_3) | instskip(NEXT) | instid1(TRANS32_DEP_2)
	v_fma_f64 v[46:47], -v[30:31], v[38:39], 1.0
	v_fma_f64 v[44:45], -v[28:29], v[36:37], 1.0
	s_delay_alu instid0(VALU_DEP_2) | instskip(NEXT) | instid1(TRANS32_DEP_1)
	v_fmac_f64_e32 v[38:39], v[38:39], v[46:47]
	v_fma_f64 v[42:43], -v[10:11], v[34:35], 1.0
	s_delay_alu instid0(VALU_DEP_3) | instskip(NEXT) | instid1(VALU_DEP_3)
	v_fmac_f64_e32 v[36:37], v[36:37], v[44:45]
	v_fma_f64 v[46:47], -v[30:31], v[38:39], 1.0
	s_delay_alu instid0(VALU_DEP_3) | instskip(NEXT) | instid1(VALU_DEP_3)
	;; [unrolled: 3-line block ×3, first 2 shown]
	v_fmac_f64_e32 v[38:39], v[38:39], v[46:47]
	v_fma_f64 v[42:43], -v[10:11], v[34:35], 1.0
	s_delay_alu instid0(VALU_DEP_3) | instskip(SKIP_1) | instid1(VALU_DEP_3)
	v_fmac_f64_e32 v[36:37], v[36:37], v[44:45]
	v_div_scale_f64 v[44:45], s5, v[14:15], v[4:5], v[14:15]
	v_fmac_f64_e32 v[34:35], v[34:35], v[42:43]
	v_div_scale_f64 v[42:43], s4, -v[8:9], v[6:7], -v[8:9]
	s_delay_alu instid0(VALU_DEP_3) | instskip(SKIP_2) | instid1(VALU_DEP_4)
	v_mul_f64_e32 v[54:55], v[44:45], v[38:39]
	v_div_scale_f64 v[32:33], null, v[4:5], v[4:5], -v[8:9]
	v_div_scale_f64 v[46:47], s6, -v[8:9], v[4:5], -v[8:9]
	v_mul_f64_e32 v[52:53], v[42:43], v[36:37]
	s_delay_alu instid0(VALU_DEP_4) | instskip(NEXT) | instid1(VALU_DEP_4)
	v_fma_f64 v[30:31], -v[30:31], v[54:55], v[44:45]
	v_rcp_f64_e32 v[40:41], v[32:33]
	s_delay_alu instid0(VALU_DEP_2) | instskip(NEXT) | instid1(TRANS32_DEP_1)
	v_fma_f64 v[28:29], -v[28:29], v[52:53], v[42:43]
	v_fma_f64 v[48:49], -v[32:33], v[40:41], 1.0
	s_delay_alu instid0(VALU_DEP_1) | instskip(NEXT) | instid1(VALU_DEP_1)
	v_fmac_f64_e32 v[40:41], v[40:41], v[48:49]
	v_fma_f64 v[48:49], -v[32:33], v[40:41], 1.0
	s_delay_alu instid0(VALU_DEP_1) | instskip(SKIP_1) | instid1(VALU_DEP_2)
	v_fmac_f64_e32 v[40:41], v[40:41], v[48:49]
	v_mul_f64_e32 v[48:49], v[50:51], v[34:35]
	v_mul_f64_e32 v[56:57], v[46:47], v[40:41]
	s_delay_alu instid0(VALU_DEP_2) | instskip(NEXT) | instid1(VALU_DEP_2)
	v_fma_f64 v[10:11], -v[10:11], v[48:49], v[50:51]
	v_fma_f64 v[32:33], -v[32:33], v[56:57], v[46:47]
	s_delay_alu instid0(VALU_DEP_2)
	v_div_fmas_f64 v[10:11], v[10:11], v[34:35], v[48:49]
	s_mov_b32 vcc_lo, s4
	s_and_b32 s4, s7, exec_lo
	v_div_fmas_f64 v[28:29], v[28:29], v[36:37], v[52:53]
	s_mov_b32 vcc_lo, s5
	s_and_not1_b32 s5, s34, exec_lo
	v_div_fmas_f64 v[30:31], v[30:31], v[38:39], v[54:55]
	s_mov_b32 vcc_lo, s6
	s_and_b32 s6, s18, exec_lo
	s_delay_alu instid0(SALU_CYCLE_1) | instskip(NEXT) | instid1(VALU_DEP_4)
	s_or_b32 s34, s5, s6
	v_div_fmas_f64 v[32:33], v[32:33], v[40:41], v[56:57]
	s_delay_alu instid0(VALU_DEP_4) | instskip(NEXT) | instid1(VALU_DEP_4)
	v_div_fixup_f64 v[10:11], v[10:11], v[6:7], v[12:13]
	v_div_fixup_f64 v[12:13], v[28:29], v[6:7], -v[8:9]
	s_delay_alu instid0(VALU_DEP_4) | instskip(NEXT) | instid1(VALU_DEP_4)
	v_div_fixup_f64 v[14:15], v[30:31], v[4:5], v[14:15]
	v_div_fixup_f64 v[30:31], v[32:33], v[4:5], -v[8:9]
	ds_store_2addr_b64 v3, v[14:15], v[30:31] offset1:1
	s_or_b32 exec_lo, exec_lo, s35
	s_and_saveexec_b32 s5, s34
	s_cbranch_execz .LBB68_23
.LBB68_42:                              ;   in Loop: Header=BB68_9 Depth=1
	s_lshl_b64 s[34:35], s[16:17], 3
	s_or_b32 s4, s4, exec_lo
	s_add_nc_u64 s[34:35], s[10:11], s[34:35]
	s_wait_dscnt 0x0
	global_store_b64 v2, v[4:5], s[34:35]
	s_wait_xcnt 0x0
	v_mov_b64_e32 v[4:5], 1.0
	s_or_b32 exec_lo, exec_lo, s5
	v_mov_b64_e32 v[6:7], 0
	s_and_saveexec_b32 s5, s4
	s_cbranch_execnz .LBB68_24
	s_branch .LBB68_25
.LBB68_43:
	s_and_saveexec_b32 s0, s2
	s_cbranch_execz .LBB68_49
; %bb.44:
	v_mul_lo_u32 v2, s12, v16
	v_mad_u32 v0, s20, v16, v1
	s_lshl_b32 s1, s20, 1
	s_mov_b32 s2, 0
	s_lshl_b32 s3, s12, 5
	v_cmp_gt_i32_e32 vcc_lo, s13, v16
	s_delay_alu instid0(VALU_DEP_3) | instskip(NEXT) | instid1(VALU_DEP_1)
	v_lshlrev_b32_e32 v2, 4, v2
	v_add3_u32 v2, v2, v17, 0
	s_branch .LBB68_46
.LBB68_45:                              ;   in Loop: Header=BB68_46 Depth=1
	s_or_b32 exec_lo, exec_lo, s4
	v_add_nc_u32_e32 v1, 0x80, v1
	v_add_nc_u32_e32 v0, 0x80, v0
	;; [unrolled: 1-line block ×3, first 2 shown]
	s_delay_alu instid0(VALU_DEP_3) | instskip(SKIP_1) | instid1(SALU_CYCLE_1)
	v_cmp_le_i32_e64 s0, s12, v1
	s_or_b32 s2, s0, s2
	s_and_not1_b32 exec_lo, exec_lo, s2
	s_cbranch_execz .LBB68_49
.LBB68_46:                              ; =>This Loop Header: Depth=1
                                        ;     Child Loop BB68_48 Depth 2
	s_and_saveexec_b32 s4, vcc_lo
	s_cbranch_execz .LBB68_45
; %bb.47:                               ;   in Loop: Header=BB68_46 Depth=1
	s_delay_alu instid0(VALU_DEP_1)
	v_dual_mov_b32 v3, v2 :: v_dual_mov_b32 v4, v0
	v_mov_b32_e32 v5, v16
	s_mov_b32 s5, 0
.LBB68_48:                              ;   Parent Loop BB68_46 Depth=1
                                        ; =>  This Inner Loop Header: Depth=2
	ds_load_2addr_b64 v[6:9], v3 offset1:1
	v_dual_add_nc_u32 v5, 2, v5 :: v_dual_add_nc_u32 v3, s3, v3
	s_delay_alu instid0(VALU_DEP_1)
	v_cmp_le_i32_e64 s0, s13, v5
	s_or_b32 s5, s0, s5
	s_wait_dscnt 0x0
	flat_store_b128 v4, v[6:9], s[14:15] scale_offset
	s_wait_xcnt 0x0
	v_add_nc_u32_e32 v4, s1, v4
	s_and_not1_b32 exec_lo, exec_lo, s5
	s_cbranch_execnz .LBB68_48
	s_branch .LBB68_45
.LBB68_49:
	s_endpgm
	.section	.rodata,"a",@progbits
	.p2align	6, 0x0
	.amdhsa_kernel _ZN9rocsolver6v33100L18geqr2_kernel_smallILi256E19rocblas_complex_numIdEidPKPS3_EEvT1_S7_T3_lS7_lPT2_lPT0_l
		.amdhsa_group_segment_fixed_size 0
		.amdhsa_private_segment_fixed_size 0
		.amdhsa_kernarg_size 72
		.amdhsa_user_sgpr_count 2
		.amdhsa_user_sgpr_dispatch_ptr 0
		.amdhsa_user_sgpr_queue_ptr 0
		.amdhsa_user_sgpr_kernarg_segment_ptr 1
		.amdhsa_user_sgpr_dispatch_id 0
		.amdhsa_user_sgpr_kernarg_preload_length 0
		.amdhsa_user_sgpr_kernarg_preload_offset 0
		.amdhsa_user_sgpr_private_segment_size 0
		.amdhsa_wavefront_size32 1
		.amdhsa_uses_dynamic_stack 0
		.amdhsa_enable_private_segment 0
		.amdhsa_system_sgpr_workgroup_id_x 1
		.amdhsa_system_sgpr_workgroup_id_y 0
		.amdhsa_system_sgpr_workgroup_id_z 1
		.amdhsa_system_sgpr_workgroup_info 0
		.amdhsa_system_vgpr_workitem_id 0
		.amdhsa_next_free_vgpr 58
		.amdhsa_next_free_sgpr 38
		.amdhsa_named_barrier_count 0
		.amdhsa_reserve_vcc 1
		.amdhsa_float_round_mode_32 0
		.amdhsa_float_round_mode_16_64 0
		.amdhsa_float_denorm_mode_32 3
		.amdhsa_float_denorm_mode_16_64 3
		.amdhsa_fp16_overflow 0
		.amdhsa_memory_ordered 1
		.amdhsa_forward_progress 1
		.amdhsa_inst_pref_size 25
		.amdhsa_round_robin_scheduling 0
		.amdhsa_exception_fp_ieee_invalid_op 0
		.amdhsa_exception_fp_denorm_src 0
		.amdhsa_exception_fp_ieee_div_zero 0
		.amdhsa_exception_fp_ieee_overflow 0
		.amdhsa_exception_fp_ieee_underflow 0
		.amdhsa_exception_fp_ieee_inexact 0
		.amdhsa_exception_int_div_zero 0
	.end_amdhsa_kernel
	.section	.text._ZN9rocsolver6v33100L18geqr2_kernel_smallILi256E19rocblas_complex_numIdEidPKPS3_EEvT1_S7_T3_lS7_lPT2_lPT0_l,"axG",@progbits,_ZN9rocsolver6v33100L18geqr2_kernel_smallILi256E19rocblas_complex_numIdEidPKPS3_EEvT1_S7_T3_lS7_lPT2_lPT0_l,comdat
.Lfunc_end68:
	.size	_ZN9rocsolver6v33100L18geqr2_kernel_smallILi256E19rocblas_complex_numIdEidPKPS3_EEvT1_S7_T3_lS7_lPT2_lPT0_l, .Lfunc_end68-_ZN9rocsolver6v33100L18geqr2_kernel_smallILi256E19rocblas_complex_numIdEidPKPS3_EEvT1_S7_T3_lS7_lPT2_lPT0_l
                                        ; -- End function
	.set _ZN9rocsolver6v33100L18geqr2_kernel_smallILi256E19rocblas_complex_numIdEidPKPS3_EEvT1_S7_T3_lS7_lPT2_lPT0_l.num_vgpr, 58
	.set _ZN9rocsolver6v33100L18geqr2_kernel_smallILi256E19rocblas_complex_numIdEidPKPS3_EEvT1_S7_T3_lS7_lPT2_lPT0_l.num_agpr, 0
	.set _ZN9rocsolver6v33100L18geqr2_kernel_smallILi256E19rocblas_complex_numIdEidPKPS3_EEvT1_S7_T3_lS7_lPT2_lPT0_l.numbered_sgpr, 38
	.set _ZN9rocsolver6v33100L18geqr2_kernel_smallILi256E19rocblas_complex_numIdEidPKPS3_EEvT1_S7_T3_lS7_lPT2_lPT0_l.num_named_barrier, 0
	.set _ZN9rocsolver6v33100L18geqr2_kernel_smallILi256E19rocblas_complex_numIdEidPKPS3_EEvT1_S7_T3_lS7_lPT2_lPT0_l.private_seg_size, 0
	.set _ZN9rocsolver6v33100L18geqr2_kernel_smallILi256E19rocblas_complex_numIdEidPKPS3_EEvT1_S7_T3_lS7_lPT2_lPT0_l.uses_vcc, 1
	.set _ZN9rocsolver6v33100L18geqr2_kernel_smallILi256E19rocblas_complex_numIdEidPKPS3_EEvT1_S7_T3_lS7_lPT2_lPT0_l.uses_flat_scratch, 0
	.set _ZN9rocsolver6v33100L18geqr2_kernel_smallILi256E19rocblas_complex_numIdEidPKPS3_EEvT1_S7_T3_lS7_lPT2_lPT0_l.has_dyn_sized_stack, 0
	.set _ZN9rocsolver6v33100L18geqr2_kernel_smallILi256E19rocblas_complex_numIdEidPKPS3_EEvT1_S7_T3_lS7_lPT2_lPT0_l.has_recursion, 0
	.set _ZN9rocsolver6v33100L18geqr2_kernel_smallILi256E19rocblas_complex_numIdEidPKPS3_EEvT1_S7_T3_lS7_lPT2_lPT0_l.has_indirect_call, 0
	.section	.AMDGPU.csdata,"",@progbits
; Kernel info:
; codeLenInByte = 3080
; TotalNumSgprs: 40
; NumVgprs: 58
; ScratchSize: 0
; MemoryBound: 0
; FloatMode: 240
; IeeeMode: 1
; LDSByteSize: 0 bytes/workgroup (compile time only)
; SGPRBlocks: 0
; VGPRBlocks: 3
; NumSGPRsForWavesPerEU: 40
; NumVGPRsForWavesPerEU: 58
; NamedBarCnt: 0
; Occupancy: 16
; WaveLimiterHint : 1
; COMPUTE_PGM_RSRC2:SCRATCH_EN: 0
; COMPUTE_PGM_RSRC2:USER_SGPR: 2
; COMPUTE_PGM_RSRC2:TRAP_HANDLER: 0
; COMPUTE_PGM_RSRC2:TGID_X_EN: 1
; COMPUTE_PGM_RSRC2:TGID_Y_EN: 0
; COMPUTE_PGM_RSRC2:TGID_Z_EN: 1
; COMPUTE_PGM_RSRC2:TIDIG_COMP_CNT: 0
	.section	.text._ZN9rocsolver6v33100L16reset_batch_infoI19rocblas_complex_numIdEiiPS3_EEvT2_lT0_T1_,"axG",@progbits,_ZN9rocsolver6v33100L16reset_batch_infoI19rocblas_complex_numIdEiiPS3_EEvT2_lT0_T1_,comdat
	.globl	_ZN9rocsolver6v33100L16reset_batch_infoI19rocblas_complex_numIdEiiPS3_EEvT2_lT0_T1_ ; -- Begin function _ZN9rocsolver6v33100L16reset_batch_infoI19rocblas_complex_numIdEiiPS3_EEvT2_lT0_T1_
	.p2align	8
	.type	_ZN9rocsolver6v33100L16reset_batch_infoI19rocblas_complex_numIdEiiPS3_EEvT2_lT0_T1_,@function
_ZN9rocsolver6v33100L16reset_batch_infoI19rocblas_complex_numIdEiiPS3_EEvT2_lT0_T1_: ; @_ZN9rocsolver6v33100L16reset_batch_infoI19rocblas_complex_numIdEiiPS3_EEvT2_lT0_T1_
; %bb.0:
	s_clause 0x1
	s_load_b32 s5, s[0:1], 0x24
	s_load_b64 s[2:3], s[0:1], 0x10
	s_bfe_u32 s4, ttmp6, 0x4000c
	s_and_b32 s6, ttmp6, 15
	s_add_co_i32 s7, s4, 1
	s_getreg_b32 s4, hwreg(HW_REG_IB_STS2, 6, 4)
	s_mul_i32 s7, ttmp9, s7
	s_delay_alu instid0(SALU_CYCLE_1) | instskip(SKIP_4) | instid1(SALU_CYCLE_1)
	s_add_co_i32 s6, s6, s7
	s_wait_kmcnt 0x0
	s_and_b32 s5, s5, 0xffff
	s_cmp_eq_u32 s4, 0
	s_cselect_b32 s6, ttmp9, s6
	v_mad_u32 v0, s6, s5, v0
	s_delay_alu instid0(VALU_DEP_1)
	v_cmp_gt_i32_e32 vcc_lo, s2, v0
	s_and_saveexec_b32 s2, vcc_lo
	s_cbranch_execz .LBB69_2
; %bb.1:
	v_cvt_f64_i32_e32 v[2:3], s3
	s_load_b128 s[0:3], s[0:1], 0x0
	s_bfe_u32 s5, ttmp6, 0x40010
	s_bfe_u32 s6, ttmp6, 0x40004
	s_add_co_i32 s5, s5, 1
	v_mov_b32_e32 v4, 0
	s_mul_i32 s5, ttmp7, s5
	s_delay_alu instid0(SALU_CYCLE_1) | instskip(SKIP_1) | instid1(VALU_DEP_1)
	s_add_co_i32 s6, s6, s5
	s_cmp_eq_u32 s4, 0
	v_mov_b32_e32 v5, v4
	s_cselect_b32 s4, ttmp7, s6
	s_delay_alu instid0(SALU_CYCLE_1) | instskip(SKIP_2) | instid1(SALU_CYCLE_1)
	s_ashr_i32 s5, s4, 31
	s_wait_kmcnt 0x0
	s_mul_u64 s[2:3], s[2:3], s[4:5]
	s_lshl_b64 s[2:3], s[2:3], 4
	s_delay_alu instid0(SALU_CYCLE_1)
	s_add_nc_u64 s[0:1], s[0:1], s[2:3]
	global_store_b128 v0, v[2:5], s[0:1] scale_offset
.LBB69_2:
	s_endpgm
	.section	.rodata,"a",@progbits
	.p2align	6, 0x0
	.amdhsa_kernel _ZN9rocsolver6v33100L16reset_batch_infoI19rocblas_complex_numIdEiiPS3_EEvT2_lT0_T1_
		.amdhsa_group_segment_fixed_size 0
		.amdhsa_private_segment_fixed_size 0
		.amdhsa_kernarg_size 280
		.amdhsa_user_sgpr_count 2
		.amdhsa_user_sgpr_dispatch_ptr 0
		.amdhsa_user_sgpr_queue_ptr 0
		.amdhsa_user_sgpr_kernarg_segment_ptr 1
		.amdhsa_user_sgpr_dispatch_id 0
		.amdhsa_user_sgpr_kernarg_preload_length 0
		.amdhsa_user_sgpr_kernarg_preload_offset 0
		.amdhsa_user_sgpr_private_segment_size 0
		.amdhsa_wavefront_size32 1
		.amdhsa_uses_dynamic_stack 0
		.amdhsa_enable_private_segment 0
		.amdhsa_system_sgpr_workgroup_id_x 1
		.amdhsa_system_sgpr_workgroup_id_y 1
		.amdhsa_system_sgpr_workgroup_id_z 0
		.amdhsa_system_sgpr_workgroup_info 0
		.amdhsa_system_vgpr_workitem_id 0
		.amdhsa_next_free_vgpr 6
		.amdhsa_next_free_sgpr 8
		.amdhsa_named_barrier_count 0
		.amdhsa_reserve_vcc 1
		.amdhsa_float_round_mode_32 0
		.amdhsa_float_round_mode_16_64 0
		.amdhsa_float_denorm_mode_32 3
		.amdhsa_float_denorm_mode_16_64 3
		.amdhsa_fp16_overflow 0
		.amdhsa_memory_ordered 1
		.amdhsa_forward_progress 1
		.amdhsa_inst_pref_size 2
		.amdhsa_round_robin_scheduling 0
		.amdhsa_exception_fp_ieee_invalid_op 0
		.amdhsa_exception_fp_denorm_src 0
		.amdhsa_exception_fp_ieee_div_zero 0
		.amdhsa_exception_fp_ieee_overflow 0
		.amdhsa_exception_fp_ieee_underflow 0
		.amdhsa_exception_fp_ieee_inexact 0
		.amdhsa_exception_int_div_zero 0
	.end_amdhsa_kernel
	.section	.text._ZN9rocsolver6v33100L16reset_batch_infoI19rocblas_complex_numIdEiiPS3_EEvT2_lT0_T1_,"axG",@progbits,_ZN9rocsolver6v33100L16reset_batch_infoI19rocblas_complex_numIdEiiPS3_EEvT2_lT0_T1_,comdat
.Lfunc_end69:
	.size	_ZN9rocsolver6v33100L16reset_batch_infoI19rocblas_complex_numIdEiiPS3_EEvT2_lT0_T1_, .Lfunc_end69-_ZN9rocsolver6v33100L16reset_batch_infoI19rocblas_complex_numIdEiiPS3_EEvT2_lT0_T1_
                                        ; -- End function
	.set _ZN9rocsolver6v33100L16reset_batch_infoI19rocblas_complex_numIdEiiPS3_EEvT2_lT0_T1_.num_vgpr, 6
	.set _ZN9rocsolver6v33100L16reset_batch_infoI19rocblas_complex_numIdEiiPS3_EEvT2_lT0_T1_.num_agpr, 0
	.set _ZN9rocsolver6v33100L16reset_batch_infoI19rocblas_complex_numIdEiiPS3_EEvT2_lT0_T1_.numbered_sgpr, 8
	.set _ZN9rocsolver6v33100L16reset_batch_infoI19rocblas_complex_numIdEiiPS3_EEvT2_lT0_T1_.num_named_barrier, 0
	.set _ZN9rocsolver6v33100L16reset_batch_infoI19rocblas_complex_numIdEiiPS3_EEvT2_lT0_T1_.private_seg_size, 0
	.set _ZN9rocsolver6v33100L16reset_batch_infoI19rocblas_complex_numIdEiiPS3_EEvT2_lT0_T1_.uses_vcc, 1
	.set _ZN9rocsolver6v33100L16reset_batch_infoI19rocblas_complex_numIdEiiPS3_EEvT2_lT0_T1_.uses_flat_scratch, 0
	.set _ZN9rocsolver6v33100L16reset_batch_infoI19rocblas_complex_numIdEiiPS3_EEvT2_lT0_T1_.has_dyn_sized_stack, 0
	.set _ZN9rocsolver6v33100L16reset_batch_infoI19rocblas_complex_numIdEiiPS3_EEvT2_lT0_T1_.has_recursion, 0
	.set _ZN9rocsolver6v33100L16reset_batch_infoI19rocblas_complex_numIdEiiPS3_EEvT2_lT0_T1_.has_indirect_call, 0
	.section	.AMDGPU.csdata,"",@progbits
; Kernel info:
; codeLenInByte = 200
; TotalNumSgprs: 10
; NumVgprs: 6
; ScratchSize: 0
; MemoryBound: 0
; FloatMode: 240
; IeeeMode: 1
; LDSByteSize: 0 bytes/workgroup (compile time only)
; SGPRBlocks: 0
; VGPRBlocks: 0
; NumSGPRsForWavesPerEU: 10
; NumVGPRsForWavesPerEU: 6
; NamedBarCnt: 0
; Occupancy: 16
; WaveLimiterHint : 0
; COMPUTE_PGM_RSRC2:SCRATCH_EN: 0
; COMPUTE_PGM_RSRC2:USER_SGPR: 2
; COMPUTE_PGM_RSRC2:TRAP_HANDLER: 0
; COMPUTE_PGM_RSRC2:TGID_X_EN: 1
; COMPUTE_PGM_RSRC2:TGID_Y_EN: 1
; COMPUTE_PGM_RSRC2:TGID_Z_EN: 0
; COMPUTE_PGM_RSRC2:TIDIG_COMP_CNT: 0
	.section	.text._ZN9rocsolver6v33100L8set_diagI19rocblas_complex_numIdEidPKPS3_TnNSt9enable_ifIXaa18rocblas_is_complexIT_Ent18rocblas_is_complexIT1_EEiE4typeELi0EEEvPS9_llT2_lT0_lSE_b,"axG",@progbits,_ZN9rocsolver6v33100L8set_diagI19rocblas_complex_numIdEidPKPS3_TnNSt9enable_ifIXaa18rocblas_is_complexIT_Ent18rocblas_is_complexIT1_EEiE4typeELi0EEEvPS9_llT2_lT0_lSE_b,comdat
	.globl	_ZN9rocsolver6v33100L8set_diagI19rocblas_complex_numIdEidPKPS3_TnNSt9enable_ifIXaa18rocblas_is_complexIT_Ent18rocblas_is_complexIT1_EEiE4typeELi0EEEvPS9_llT2_lT0_lSE_b ; -- Begin function _ZN9rocsolver6v33100L8set_diagI19rocblas_complex_numIdEidPKPS3_TnNSt9enable_ifIXaa18rocblas_is_complexIT_Ent18rocblas_is_complexIT1_EEiE4typeELi0EEEvPS9_llT2_lT0_lSE_b
	.p2align	8
	.type	_ZN9rocsolver6v33100L8set_diagI19rocblas_complex_numIdEidPKPS3_TnNSt9enable_ifIXaa18rocblas_is_complexIT_Ent18rocblas_is_complexIT1_EEiE4typeELi0EEEvPS9_llT2_lT0_lSE_b,@function
_ZN9rocsolver6v33100L8set_diagI19rocblas_complex_numIdEidPKPS3_TnNSt9enable_ifIXaa18rocblas_is_complexIT_Ent18rocblas_is_complexIT1_EEiE4typeELi0EEEvPS9_llT2_lT0_lSE_b: ; @_ZN9rocsolver6v33100L8set_diagI19rocblas_complex_numIdEidPKPS3_TnNSt9enable_ifIXaa18rocblas_is_complexIT_Ent18rocblas_is_complexIT1_EEiE4typeELi0EEEvPS9_llT2_lT0_lSE_b
; %bb.0:
	s_load_u16 s4, s[0:1], 0x4e
	s_bfe_u32 s2, ttmp6, 0x40010
	s_bfe_u32 s6, ttmp6, 0x40004
	s_add_co_i32 s5, s2, 1
	s_load_b64 s[2:3], s[0:1], 0x38
	s_mul_i32 s5, ttmp7, s5
	s_getreg_b32 s12, hwreg(HW_REG_IB_STS2, 6, 4)
	s_add_co_i32 s6, s6, s5
	v_bfe_u32 v0, v0, 10, 10
	s_cmp_eq_u32 s12, 0
	s_cselect_b32 s5, ttmp7, s6
	s_wait_kmcnt 0x0
	s_delay_alu instid0(VALU_DEP_1) | instskip(NEXT) | instid1(VALU_DEP_1)
	v_mad_u32 v2, s5, s4, v0
	v_cmp_gt_i32_e32 vcc_lo, s2, v2
	s_and_saveexec_b32 s2, vcc_lo
	s_cbranch_execz .LBB70_5
; %bb.1:
	s_load_b256 s[4:11], s[0:1], 0x0
	s_bitcmp1_b32 s3, 0
	s_wait_xcnt 0x0
	s_load_b96 s[0:2], s[0:1], 0x20
	s_cselect_b32 s16, -1, 0
	s_bfe_u32 s3, ttmp6, 0x4000c
	s_and_b32 s13, ttmp6, 15
	s_add_co_i32 s3, s3, 1
	s_delay_alu instid0(SALU_CYCLE_1) | instskip(NEXT) | instid1(SALU_CYCLE_1)
	s_mul_i32 s3, ttmp9, s3
	s_add_co_i32 s13, s13, s3
	s_cmp_eq_u32 s12, 0
	s_cselect_b32 s12, ttmp9, s13
	s_and_b32 vcc_lo, exec_lo, s16
	s_ashr_i32 s13, s12, 31
	s_delay_alu instid0(SALU_CYCLE_1)
	s_lshl_b64 s[14:15], s[12:13], 3
	s_wait_kmcnt 0x0
	s_add_nc_u64 s[10:11], s[10:11], s[14:15]
	v_mad_u32 v0, v2, s2, v2
	s_load_b64 s[10:11], s[10:11], 0x0
	s_lshl_b64 s[0:1], s[0:1], 4
	s_lshl_b64 s[2:3], s[6:7], 3
	s_delay_alu instid0(VALU_DEP_1)
	v_ashrrev_i32_e32 v1, 31, v0
	s_wait_kmcnt 0x0
	s_add_nc_u64 s[0:1], s[10:11], s[0:1]
	s_delay_alu instid0(VALU_DEP_1) | instid1(SALU_CYCLE_1)
	v_lshl_add_u64 v[4:5], v[0:1], 4, s[0:1]
	s_mul_u64 s[0:1], s[8:9], s[12:13]
	s_delay_alu instid0(SALU_CYCLE_1) | instskip(SKIP_2) | instid1(SALU_CYCLE_1)
	s_lshl_b64 s[0:1], s[0:1], 3
	flat_load_b64 v[0:1], v[4:5]
	s_add_nc_u64 s[0:1], s[4:5], s[0:1]
	s_add_nc_u64 s[0:1], s[0:1], s[2:3]
	s_wait_loadcnt_dscnt 0x0
	global_store_b64 v2, v[0:1], s[0:1] scale_offset
	s_cbranch_vccnz .LBB70_3
; %bb.2:
	flat_load_b64 v[2:3], v[4:5] offset:8
	s_branch .LBB70_4
.LBB70_3:
	s_wait_xcnt 0x0
	v_mov_b64_e32 v[0:1], 1.0
	v_mov_b64_e32 v[2:3], 0
.LBB70_4:
	s_wait_loadcnt_dscnt 0x0
	flat_store_b128 v[4:5], v[0:3]
.LBB70_5:
	s_endpgm
	.section	.rodata,"a",@progbits
	.p2align	6, 0x0
	.amdhsa_kernel _ZN9rocsolver6v33100L8set_diagI19rocblas_complex_numIdEidPKPS3_TnNSt9enable_ifIXaa18rocblas_is_complexIT_Ent18rocblas_is_complexIT1_EEiE4typeELi0EEEvPS9_llT2_lT0_lSE_b
		.amdhsa_group_segment_fixed_size 0
		.amdhsa_private_segment_fixed_size 0
		.amdhsa_kernarg_size 320
		.amdhsa_user_sgpr_count 2
		.amdhsa_user_sgpr_dispatch_ptr 0
		.amdhsa_user_sgpr_queue_ptr 0
		.amdhsa_user_sgpr_kernarg_segment_ptr 1
		.amdhsa_user_sgpr_dispatch_id 0
		.amdhsa_user_sgpr_kernarg_preload_length 0
		.amdhsa_user_sgpr_kernarg_preload_offset 0
		.amdhsa_user_sgpr_private_segment_size 0
		.amdhsa_wavefront_size32 1
		.amdhsa_uses_dynamic_stack 0
		.amdhsa_enable_private_segment 0
		.amdhsa_system_sgpr_workgroup_id_x 1
		.amdhsa_system_sgpr_workgroup_id_y 1
		.amdhsa_system_sgpr_workgroup_id_z 0
		.amdhsa_system_sgpr_workgroup_info 0
		.amdhsa_system_vgpr_workitem_id 1
		.amdhsa_next_free_vgpr 6
		.amdhsa_next_free_sgpr 17
		.amdhsa_named_barrier_count 0
		.amdhsa_reserve_vcc 1
		.amdhsa_float_round_mode_32 0
		.amdhsa_float_round_mode_16_64 0
		.amdhsa_float_denorm_mode_32 3
		.amdhsa_float_denorm_mode_16_64 3
		.amdhsa_fp16_overflow 0
		.amdhsa_memory_ordered 1
		.amdhsa_forward_progress 1
		.amdhsa_inst_pref_size 3
		.amdhsa_round_robin_scheduling 0
		.amdhsa_exception_fp_ieee_invalid_op 0
		.amdhsa_exception_fp_denorm_src 0
		.amdhsa_exception_fp_ieee_div_zero 0
		.amdhsa_exception_fp_ieee_overflow 0
		.amdhsa_exception_fp_ieee_underflow 0
		.amdhsa_exception_fp_ieee_inexact 0
		.amdhsa_exception_int_div_zero 0
	.end_amdhsa_kernel
	.section	.text._ZN9rocsolver6v33100L8set_diagI19rocblas_complex_numIdEidPKPS3_TnNSt9enable_ifIXaa18rocblas_is_complexIT_Ent18rocblas_is_complexIT1_EEiE4typeELi0EEEvPS9_llT2_lT0_lSE_b,"axG",@progbits,_ZN9rocsolver6v33100L8set_diagI19rocblas_complex_numIdEidPKPS3_TnNSt9enable_ifIXaa18rocblas_is_complexIT_Ent18rocblas_is_complexIT1_EEiE4typeELi0EEEvPS9_llT2_lT0_lSE_b,comdat
.Lfunc_end70:
	.size	_ZN9rocsolver6v33100L8set_diagI19rocblas_complex_numIdEidPKPS3_TnNSt9enable_ifIXaa18rocblas_is_complexIT_Ent18rocblas_is_complexIT1_EEiE4typeELi0EEEvPS9_llT2_lT0_lSE_b, .Lfunc_end70-_ZN9rocsolver6v33100L8set_diagI19rocblas_complex_numIdEidPKPS3_TnNSt9enable_ifIXaa18rocblas_is_complexIT_Ent18rocblas_is_complexIT1_EEiE4typeELi0EEEvPS9_llT2_lT0_lSE_b
                                        ; -- End function
	.set _ZN9rocsolver6v33100L8set_diagI19rocblas_complex_numIdEidPKPS3_TnNSt9enable_ifIXaa18rocblas_is_complexIT_Ent18rocblas_is_complexIT1_EEiE4typeELi0EEEvPS9_llT2_lT0_lSE_b.num_vgpr, 6
	.set _ZN9rocsolver6v33100L8set_diagI19rocblas_complex_numIdEidPKPS3_TnNSt9enable_ifIXaa18rocblas_is_complexIT_Ent18rocblas_is_complexIT1_EEiE4typeELi0EEEvPS9_llT2_lT0_lSE_b.num_agpr, 0
	.set _ZN9rocsolver6v33100L8set_diagI19rocblas_complex_numIdEidPKPS3_TnNSt9enable_ifIXaa18rocblas_is_complexIT_Ent18rocblas_is_complexIT1_EEiE4typeELi0EEEvPS9_llT2_lT0_lSE_b.numbered_sgpr, 17
	.set _ZN9rocsolver6v33100L8set_diagI19rocblas_complex_numIdEidPKPS3_TnNSt9enable_ifIXaa18rocblas_is_complexIT_Ent18rocblas_is_complexIT1_EEiE4typeELi0EEEvPS9_llT2_lT0_lSE_b.num_named_barrier, 0
	.set _ZN9rocsolver6v33100L8set_diagI19rocblas_complex_numIdEidPKPS3_TnNSt9enable_ifIXaa18rocblas_is_complexIT_Ent18rocblas_is_complexIT1_EEiE4typeELi0EEEvPS9_llT2_lT0_lSE_b.private_seg_size, 0
	.set _ZN9rocsolver6v33100L8set_diagI19rocblas_complex_numIdEidPKPS3_TnNSt9enable_ifIXaa18rocblas_is_complexIT_Ent18rocblas_is_complexIT1_EEiE4typeELi0EEEvPS9_llT2_lT0_lSE_b.uses_vcc, 1
	.set _ZN9rocsolver6v33100L8set_diagI19rocblas_complex_numIdEidPKPS3_TnNSt9enable_ifIXaa18rocblas_is_complexIT_Ent18rocblas_is_complexIT1_EEiE4typeELi0EEEvPS9_llT2_lT0_lSE_b.uses_flat_scratch, 0
	.set _ZN9rocsolver6v33100L8set_diagI19rocblas_complex_numIdEidPKPS3_TnNSt9enable_ifIXaa18rocblas_is_complexIT_Ent18rocblas_is_complexIT1_EEiE4typeELi0EEEvPS9_llT2_lT0_lSE_b.has_dyn_sized_stack, 0
	.set _ZN9rocsolver6v33100L8set_diagI19rocblas_complex_numIdEidPKPS3_TnNSt9enable_ifIXaa18rocblas_is_complexIT_Ent18rocblas_is_complexIT1_EEiE4typeELi0EEEvPS9_llT2_lT0_lSE_b.has_recursion, 0
	.set _ZN9rocsolver6v33100L8set_diagI19rocblas_complex_numIdEidPKPS3_TnNSt9enable_ifIXaa18rocblas_is_complexIT_Ent18rocblas_is_complexIT1_EEiE4typeELi0EEEvPS9_llT2_lT0_lSE_b.has_indirect_call, 0
	.section	.AMDGPU.csdata,"",@progbits
; Kernel info:
; codeLenInByte = 332
; TotalNumSgprs: 19
; NumVgprs: 6
; ScratchSize: 0
; MemoryBound: 0
; FloatMode: 240
; IeeeMode: 1
; LDSByteSize: 0 bytes/workgroup (compile time only)
; SGPRBlocks: 0
; VGPRBlocks: 0
; NumSGPRsForWavesPerEU: 19
; NumVGPRsForWavesPerEU: 6
; NamedBarCnt: 0
; Occupancy: 16
; WaveLimiterHint : 1
; COMPUTE_PGM_RSRC2:SCRATCH_EN: 0
; COMPUTE_PGM_RSRC2:USER_SGPR: 2
; COMPUTE_PGM_RSRC2:TRAP_HANDLER: 0
; COMPUTE_PGM_RSRC2:TGID_X_EN: 1
; COMPUTE_PGM_RSRC2:TGID_Y_EN: 1
; COMPUTE_PGM_RSRC2:TGID_Z_EN: 0
; COMPUTE_PGM_RSRC2:TIDIG_COMP_CNT: 1
	.section	.text._ZN9rocsolver6v33100L11set_taubetaI19rocblas_complex_numIdEidPKPS3_EEvPT_lS8_T2_llPT1_ll,"axG",@progbits,_ZN9rocsolver6v33100L11set_taubetaI19rocblas_complex_numIdEidPKPS3_EEvPT_lS8_T2_llPT1_ll,comdat
	.globl	_ZN9rocsolver6v33100L11set_taubetaI19rocblas_complex_numIdEidPKPS3_EEvPT_lS8_T2_llPT1_ll ; -- Begin function _ZN9rocsolver6v33100L11set_taubetaI19rocblas_complex_numIdEidPKPS3_EEvPT_lS8_T2_llPT1_ll
	.p2align	8
	.type	_ZN9rocsolver6v33100L11set_taubetaI19rocblas_complex_numIdEidPKPS3_EEvPT_lS8_T2_llPT1_ll,@function
_ZN9rocsolver6v33100L11set_taubetaI19rocblas_complex_numIdEidPKPS3_EEvPT_lS8_T2_llPT1_ll: ; @_ZN9rocsolver6v33100L11set_taubetaI19rocblas_complex_numIdEidPKPS3_EEvPT_lS8_T2_llPT1_ll
; %bb.0:
	s_load_b256 s[4:11], s[0:1], 0x0
	s_bfe_u32 s2, ttmp6, 0x4000c
	s_and_b32 s3, ttmp6, 15
	s_add_co_i32 s2, s2, 1
	s_getreg_b32 s12, hwreg(HW_REG_IB_STS2, 6, 4)
	s_mul_i32 s2, ttmp9, s2
	s_mov_b32 s20, 0
	s_add_co_i32 s3, s3, s2
	s_cmp_eq_u32 s12, 0
	s_load_b128 s[12:15], s[0:1], 0x30
	s_cselect_b32 s2, ttmp9, s3
	s_delay_alu instid0(SALU_CYCLE_1) | instskip(NEXT) | instid1(SALU_CYCLE_1)
	s_ashr_i32 s3, s2, 31
	s_lshl_b64 s[16:17], s[2:3], 3
	s_wait_kmcnt 0x0
	s_add_nc_u64 s[16:17], s[10:11], s[16:17]
	s_load_b64 s[18:19], s[0:1], 0x20
	s_load_b64 s[10:11], s[16:17], 0x0
	s_wait_xcnt 0x0
	s_mov_b64 s[16:17], 0
	s_cmp_eq_u64 s[12:13], 0
	s_cbranch_scc1 .LBB71_2
; %bb.1:
	s_load_b64 s[0:1], s[0:1], 0x40
	s_wait_kmcnt 0x0
	s_mul_u64 s[0:1], s[0:1], s[2:3]
	s_delay_alu instid0(SALU_CYCLE_1) | instskip(NEXT) | instid1(SALU_CYCLE_1)
	s_lshl_b64 s[0:1], s[0:1], 3
	s_add_nc_u64 s[0:1], s[12:13], s[0:1]
	s_lshl_b64 s[12:13], s[14:15], 3
	s_delay_alu instid0(SALU_CYCLE_1)
	s_add_nc_u64 s[16:17], s[0:1], s[12:13]
.LBB71_2:
	v_mov_b32_e32 v2, 0
	s_wait_kmcnt 0x0
	s_lshl_b64 s[0:1], s[18:19], 4
	s_delay_alu instid0(SALU_CYCLE_1)
	s_add_nc_u64 s[10:11], s[10:11], s[0:1]
	s_lshl_b64 s[0:1], s[2:3], 4
	flat_load_b64 v[4:5], v2, s[10:11] offset:8
	s_add_nc_u64 s[8:9], s[8:9], s[0:1]
	s_mul_u64 s[2:3], s[6:7], s[2:3]
	s_load_b64 s[0:1], s[8:9], 0x0
	s_lshl_b64 s[6:7], s[2:3], 4
	s_cmp_eq_u64 s[16:17], 0
	s_add_nc_u64 s[4:5], s[4:5], s[6:7]
	s_cselect_b32 s3, -1, 0
	s_cmp_lg_u64 s[16:17], 0
	s_cselect_b32 s6, -1, 0
	s_wait_kmcnt 0x0
	v_max_num_f64_e64 v[0:1], s[0:1], s[0:1]
	s_wait_loadcnt_dscnt 0x0
	v_mul_f64_e32 v[6:7], v[4:5], v[4:5]
	s_delay_alu instid0(VALU_DEP_1) | instskip(NEXT) | instid1(VALU_DEP_1)
	v_max_num_f64_e32 v[0:1], v[0:1], v[6:7]
	v_cmp_nlt_f64_e32 vcc_lo, 0, v[0:1]
                                        ; implicit-def: $vgpr0_vgpr1
	s_and_saveexec_b32 s2, vcc_lo
	s_delay_alu instid0(SALU_CYCLE_1)
	s_xor_b32 s2, exec_lo, s2
	s_cbranch_execnz .LBB71_7
; %bb.3:
	s_or_saveexec_b32 s7, s2
	s_mov_b32 s2, 0
	s_xor_b32 exec_lo, exec_lo, s7
	s_cbranch_execnz .LBB71_10
.LBB71_4:
	s_or_b32 exec_lo, exec_lo, s7
	s_and_saveexec_b32 s0, s20
	s_cbranch_execnz .LBB71_11
.LBB71_5:
	s_or_b32 exec_lo, exec_lo, s0
	s_and_saveexec_b32 s0, s2
	s_cbranch_execnz .LBB71_12
.LBB71_6:
	s_endpgm
.LBB71_7:
	v_dual_mov_b32 v3, 0x3ff00000 :: v_dual_mov_b32 v4, v2
	v_mov_b32_e32 v5, v2
	s_mov_b32 s7, 0
	s_and_b32 vcc_lo, exec_lo, s6
                                        ; implicit-def: $vgpr0_vgpr1
	global_store_b128 v2, v[2:5], s[8:9]
	s_wait_xcnt 0x0
	v_mov_b32_e32 v3, v2
	global_store_b128 v2, v[2:5], s[4:5]
	s_cbranch_vccz .LBB71_9
; %bb.8:
	v_mov_b32_e32 v0, 0
	s_mov_b32 s7, -1
	flat_load_b64 v[0:1], v0, s[10:11]
.LBB71_9:
	s_and_b32 s20, s7, exec_lo
                                        ; implicit-def: $vgpr6_vgpr7
                                        ; implicit-def: $vgpr4_vgpr5
	s_wait_xcnt 0x0
	s_or_saveexec_b32 s7, s2
	s_mov_b32 s2, 0
	s_xor_b32 exec_lo, exec_lo, s7
	s_cbranch_execz .LBB71_4
.LBB71_10:
	v_mov_b32_e32 v42, 0
	flat_load_b64 v[2:3], v42, s[10:11]
	s_wait_loadcnt_dscnt 0x0
	v_fma_f64 v[0:1], v[2:3], v[2:3], v[6:7]
	s_delay_alu instid0(VALU_DEP_1) | instskip(NEXT) | instid1(VALU_DEP_1)
	v_add_f64_e32 v[0:1], s[0:1], v[0:1]
	v_cmp_gt_f64_e32 vcc_lo, 0x10000000, v[0:1]
	v_cndmask_b32_e64 v8, 0, 0x100, vcc_lo
	s_delay_alu instid0(VALU_DEP_1) | instskip(NEXT) | instid1(VALU_DEP_1)
	v_ldexp_f64 v[0:1], v[0:1], v8
	v_rsq_f64_e32 v[8:9], v[0:1]
	v_nop
	s_delay_alu instid0(TRANS32_DEP_1) | instskip(SKIP_1) | instid1(VALU_DEP_1)
	v_mul_f64_e32 v[10:11], v[0:1], v[8:9]
	v_mul_f64_e32 v[8:9], 0.5, v[8:9]
	v_fma_f64 v[12:13], -v[8:9], v[10:11], 0.5
	s_delay_alu instid0(VALU_DEP_1) | instskip(SKIP_1) | instid1(VALU_DEP_2)
	v_fmac_f64_e32 v[10:11], v[10:11], v[12:13]
	v_fmac_f64_e32 v[8:9], v[8:9], v[12:13]
	v_fma_f64 v[12:13], -v[10:11], v[10:11], v[0:1]
	s_delay_alu instid0(VALU_DEP_1) | instskip(NEXT) | instid1(VALU_DEP_1)
	v_fmac_f64_e32 v[10:11], v[12:13], v[8:9]
	v_fma_f64 v[12:13], -v[10:11], v[10:11], v[0:1]
	s_delay_alu instid0(VALU_DEP_1) | instskip(SKIP_2) | instid1(VALU_DEP_2)
	v_fmac_f64_e32 v[10:11], v[12:13], v[8:9]
	v_cndmask_b32_e64 v8, 0, 0xffffff80, vcc_lo
	v_cmp_class_f64_e64 vcc_lo, v[0:1], 0x260
	v_ldexp_f64 v[8:9], v[10:11], v8
	s_delay_alu instid0(VALU_DEP_1) | instskip(SKIP_1) | instid1(VALU_DEP_2)
	v_dual_cndmask_b32 v0, v8, v0 :: v_dual_cndmask_b32 v1, v9, v1
	v_cmp_le_f64_e32 vcc_lo, 0, v[2:3]
	v_xor_b32_e32 v8, 0x80000000, v1
	s_delay_alu instid0(VALU_DEP_1) | instskip(NEXT) | instid1(VALU_DEP_1)
	v_cndmask_b32_e32 v1, v1, v8, vcc_lo
	v_add_f64_e64 v[8:9], v[2:3], -v[0:1]
	v_div_scale_f64 v[16:17], null, v[0:1], v[0:1], -v[4:5]
	s_delay_alu instid0(VALU_DEP_2) | instskip(NEXT) | instid1(VALU_DEP_2)
	v_fmac_f64_e32 v[6:7], v[8:9], v[8:9]
	v_rcp_f64_e32 v[24:25], v[16:17]
	s_delay_alu instid0(VALU_DEP_1) | instskip(SKIP_2) | instid1(TRANS32_DEP_1)
	v_div_scale_f64 v[10:11], null, v[6:7], v[6:7], v[8:9]
	v_div_scale_f64 v[34:35], vcc_lo, v[8:9], v[6:7], v[8:9]
	v_div_scale_f64 v[12:13], null, v[6:7], v[6:7], -v[4:5]
	v_fma_f64 v[32:33], -v[16:17], v[24:25], 1.0
	s_delay_alu instid0(VALU_DEP_4) | instskip(NEXT) | instid1(VALU_DEP_2)
	v_rcp_f64_e32 v[18:19], v[10:11]
	v_rcp_f64_e32 v[20:21], v[12:13]
	s_delay_alu instid0(VALU_DEP_1) | instskip(NEXT) | instid1(TRANS32_DEP_2)
	v_fmac_f64_e32 v[24:25], v[24:25], v[32:33]
	v_fma_f64 v[26:27], -v[10:11], v[18:19], 1.0
	s_delay_alu instid0(VALU_DEP_2) | instskip(NEXT) | instid1(TRANS32_DEP_1)
	v_fma_f64 v[32:33], -v[16:17], v[24:25], 1.0
	v_fma_f64 v[28:29], -v[12:13], v[20:21], 1.0
	s_delay_alu instid0(VALU_DEP_3) | instskip(NEXT) | instid1(VALU_DEP_3)
	v_fmac_f64_e32 v[18:19], v[18:19], v[26:27]
	v_fmac_f64_e32 v[24:25], v[24:25], v[32:33]
	s_delay_alu instid0(VALU_DEP_3) | instskip(NEXT) | instid1(VALU_DEP_3)
	v_fmac_f64_e32 v[20:21], v[20:21], v[28:29]
	v_fma_f64 v[26:27], -v[10:11], v[18:19], 1.0
	s_delay_alu instid0(VALU_DEP_2) | instskip(NEXT) | instid1(VALU_DEP_2)
	v_fma_f64 v[28:29], -v[12:13], v[20:21], 1.0
	v_fmac_f64_e32 v[18:19], v[18:19], v[26:27]
	v_div_scale_f64 v[26:27], s0, -v[4:5], v[6:7], -v[4:5]
	s_delay_alu instid0(VALU_DEP_3) | instskip(NEXT) | instid1(VALU_DEP_3)
	v_fmac_f64_e32 v[20:21], v[20:21], v[28:29]
	v_mul_f64_e32 v[32:33], v[34:35], v[18:19]
	v_add_f64_e64 v[2:3], v[0:1], -v[2:3]
	s_delay_alu instid0(VALU_DEP_3) | instskip(NEXT) | instid1(VALU_DEP_3)
	v_mul_f64_e32 v[36:37], v[26:27], v[20:21]
	v_fma_f64 v[10:11], -v[10:11], v[32:33], v[34:35]
	s_delay_alu instid0(VALU_DEP_3) | instskip(SKIP_1) | instid1(VALU_DEP_4)
	v_div_scale_f64 v[14:15], null, v[0:1], v[0:1], v[2:3]
	v_div_scale_f64 v[28:29], s1, v[2:3], v[0:1], v[2:3]
	v_fma_f64 v[12:13], -v[12:13], v[36:37], v[26:27]
	s_delay_alu instid0(VALU_DEP_4) | instskip(NEXT) | instid1(VALU_DEP_4)
	v_div_fmas_f64 v[10:11], v[10:11], v[18:19], v[32:33]
	v_rcp_f64_e32 v[22:23], v[14:15]
	s_mov_b32 vcc_lo, s0
	s_and_not1_b32 s0, s20, exec_lo
	s_delay_alu instid0(VALU_DEP_2) | instskip(SKIP_2) | instid1(SALU_CYCLE_1)
	v_div_fmas_f64 v[12:13], v[12:13], v[20:21], v[36:37]
	s_mov_b32 vcc_lo, s1
	s_and_b32 s1, s6, exec_lo
	s_or_b32 s20, s0, s1
	s_delay_alu instid0(VALU_DEP_2) | instskip(NEXT) | instid1(VALU_DEP_2)
	v_div_fixup_f64 v[8:9], v[10:11], v[6:7], v[8:9]
	v_div_fixup_f64 v[10:11], v[12:13], v[6:7], -v[4:5]
	s_delay_alu instid0(TRANS32_DEP_1) | instskip(SKIP_2) | instid1(VALU_DEP_1)
	v_fma_f64 v[30:31], -v[14:15], v[22:23], 1.0
	global_store_b128 v42, v[8:11], s[8:9]
	v_fmac_f64_e32 v[22:23], v[22:23], v[30:31]
	v_fma_f64 v[30:31], -v[14:15], v[22:23], 1.0
	s_delay_alu instid0(VALU_DEP_1) | instskip(SKIP_1) | instid1(VALU_DEP_2)
	v_fmac_f64_e32 v[22:23], v[22:23], v[30:31]
	v_div_scale_f64 v[30:31], s2, -v[4:5], v[0:1], -v[4:5]
	v_mul_f64_e32 v[38:39], v[28:29], v[22:23]
	s_delay_alu instid0(VALU_DEP_2) | instskip(NEXT) | instid1(VALU_DEP_2)
	v_mul_f64_e32 v[40:41], v[30:31], v[24:25]
	v_fma_f64 v[14:15], -v[14:15], v[38:39], v[28:29]
	s_delay_alu instid0(VALU_DEP_2) | instskip(NEXT) | instid1(VALU_DEP_2)
	v_fma_f64 v[16:17], -v[16:17], v[40:41], v[30:31]
	v_div_fmas_f64 v[14:15], v[14:15], v[22:23], v[38:39]
	s_mov_b32 vcc_lo, s2
	s_and_b32 s2, s3, exec_lo
	s_delay_alu instid0(VALU_DEP_2) | instskip(NEXT) | instid1(VALU_DEP_2)
	v_div_fmas_f64 v[16:17], v[16:17], v[24:25], v[40:41]
	v_div_fixup_f64 v[2:3], v[14:15], v[0:1], v[2:3]
	s_delay_alu instid0(VALU_DEP_2)
	v_div_fixup_f64 v[4:5], v[16:17], v[0:1], -v[4:5]
	global_store_b128 v42, v[2:5], s[4:5]
	s_wait_xcnt 0x0
	s_or_b32 exec_lo, exec_lo, s7
	s_and_saveexec_b32 s0, s20
	s_cbranch_execz .LBB71_5
.LBB71_11:
	v_mov_b32_e32 v2, 0
	s_or_b32 s2, s2, exec_lo
	s_wait_loadcnt_dscnt 0x0
	global_store_b64 v2, v[0:1], s[16:17]
	s_wait_xcnt 0x0
	v_mov_b64_e32 v[0:1], 1.0
	s_or_b32 exec_lo, exec_lo, s0
	s_and_saveexec_b32 s0, s2
	s_cbranch_execz .LBB71_6
.LBB71_12:
	v_mov_b32_e32 v2, 0
	s_delay_alu instid0(VALU_DEP_1)
	v_mov_b32_e32 v3, v2
	s_wait_loadcnt_dscnt 0x0
	flat_store_b128 v2, v[0:3], s[10:11]
	s_endpgm
	.section	.rodata,"a",@progbits
	.p2align	6, 0x0
	.amdhsa_kernel _ZN9rocsolver6v33100L11set_taubetaI19rocblas_complex_numIdEidPKPS3_EEvPT_lS8_T2_llPT1_ll
		.amdhsa_group_segment_fixed_size 0
		.amdhsa_private_segment_fixed_size 0
		.amdhsa_kernarg_size 72
		.amdhsa_user_sgpr_count 2
		.amdhsa_user_sgpr_dispatch_ptr 0
		.amdhsa_user_sgpr_queue_ptr 0
		.amdhsa_user_sgpr_kernarg_segment_ptr 1
		.amdhsa_user_sgpr_dispatch_id 0
		.amdhsa_user_sgpr_kernarg_preload_length 0
		.amdhsa_user_sgpr_kernarg_preload_offset 0
		.amdhsa_user_sgpr_private_segment_size 0
		.amdhsa_wavefront_size32 1
		.amdhsa_uses_dynamic_stack 0
		.amdhsa_enable_private_segment 0
		.amdhsa_system_sgpr_workgroup_id_x 1
		.amdhsa_system_sgpr_workgroup_id_y 0
		.amdhsa_system_sgpr_workgroup_id_z 0
		.amdhsa_system_sgpr_workgroup_info 0
		.amdhsa_system_vgpr_workitem_id 0
		.amdhsa_next_free_vgpr 43
		.amdhsa_next_free_sgpr 21
		.amdhsa_named_barrier_count 0
		.amdhsa_reserve_vcc 1
		.amdhsa_float_round_mode_32 0
		.amdhsa_float_round_mode_16_64 0
		.amdhsa_float_denorm_mode_32 3
		.amdhsa_float_denorm_mode_16_64 3
		.amdhsa_fp16_overflow 0
		.amdhsa_memory_ordered 1
		.amdhsa_forward_progress 1
		.amdhsa_inst_pref_size 10
		.amdhsa_round_robin_scheduling 0
		.amdhsa_exception_fp_ieee_invalid_op 0
		.amdhsa_exception_fp_denorm_src 0
		.amdhsa_exception_fp_ieee_div_zero 0
		.amdhsa_exception_fp_ieee_overflow 0
		.amdhsa_exception_fp_ieee_underflow 0
		.amdhsa_exception_fp_ieee_inexact 0
		.amdhsa_exception_int_div_zero 0
	.end_amdhsa_kernel
	.section	.text._ZN9rocsolver6v33100L11set_taubetaI19rocblas_complex_numIdEidPKPS3_EEvPT_lS8_T2_llPT1_ll,"axG",@progbits,_ZN9rocsolver6v33100L11set_taubetaI19rocblas_complex_numIdEidPKPS3_EEvPT_lS8_T2_llPT1_ll,comdat
.Lfunc_end71:
	.size	_ZN9rocsolver6v33100L11set_taubetaI19rocblas_complex_numIdEidPKPS3_EEvPT_lS8_T2_llPT1_ll, .Lfunc_end71-_ZN9rocsolver6v33100L11set_taubetaI19rocblas_complex_numIdEidPKPS3_EEvPT_lS8_T2_llPT1_ll
                                        ; -- End function
	.set _ZN9rocsolver6v33100L11set_taubetaI19rocblas_complex_numIdEidPKPS3_EEvPT_lS8_T2_llPT1_ll.num_vgpr, 43
	.set _ZN9rocsolver6v33100L11set_taubetaI19rocblas_complex_numIdEidPKPS3_EEvPT_lS8_T2_llPT1_ll.num_agpr, 0
	.set _ZN9rocsolver6v33100L11set_taubetaI19rocblas_complex_numIdEidPKPS3_EEvPT_lS8_T2_llPT1_ll.numbered_sgpr, 21
	.set _ZN9rocsolver6v33100L11set_taubetaI19rocblas_complex_numIdEidPKPS3_EEvPT_lS8_T2_llPT1_ll.num_named_barrier, 0
	.set _ZN9rocsolver6v33100L11set_taubetaI19rocblas_complex_numIdEidPKPS3_EEvPT_lS8_T2_llPT1_ll.private_seg_size, 0
	.set _ZN9rocsolver6v33100L11set_taubetaI19rocblas_complex_numIdEidPKPS3_EEvPT_lS8_T2_llPT1_ll.uses_vcc, 1
	.set _ZN9rocsolver6v33100L11set_taubetaI19rocblas_complex_numIdEidPKPS3_EEvPT_lS8_T2_llPT1_ll.uses_flat_scratch, 0
	.set _ZN9rocsolver6v33100L11set_taubetaI19rocblas_complex_numIdEidPKPS3_EEvPT_lS8_T2_llPT1_ll.has_dyn_sized_stack, 0
	.set _ZN9rocsolver6v33100L11set_taubetaI19rocblas_complex_numIdEidPKPS3_EEvPT_lS8_T2_llPT1_ll.has_recursion, 0
	.set _ZN9rocsolver6v33100L11set_taubetaI19rocblas_complex_numIdEidPKPS3_EEvPT_lS8_T2_llPT1_ll.has_indirect_call, 0
	.section	.AMDGPU.csdata,"",@progbits
; Kernel info:
; codeLenInByte = 1156
; TotalNumSgprs: 23
; NumVgprs: 43
; ScratchSize: 0
; MemoryBound: 0
; FloatMode: 240
; IeeeMode: 1
; LDSByteSize: 0 bytes/workgroup (compile time only)
; SGPRBlocks: 0
; VGPRBlocks: 2
; NumSGPRsForWavesPerEU: 23
; NumVGPRsForWavesPerEU: 43
; NamedBarCnt: 0
; Occupancy: 16
; WaveLimiterHint : 1
; COMPUTE_PGM_RSRC2:SCRATCH_EN: 0
; COMPUTE_PGM_RSRC2:USER_SGPR: 2
; COMPUTE_PGM_RSRC2:TRAP_HANDLER: 0
; COMPUTE_PGM_RSRC2:TGID_X_EN: 1
; COMPUTE_PGM_RSRC2:TGID_Y_EN: 0
; COMPUTE_PGM_RSRC2:TGID_Z_EN: 0
; COMPUTE_PGM_RSRC2:TIDIG_COMP_CNT: 0
	.section	.text._ZN9rocsolver6v33100L13conj_in_placeI19rocblas_complex_numIdEiPS3_TnNSt9enable_ifIX18rocblas_is_complexIT_EEiE4typeELi0EEEvT0_S9_T1_lS9_l,"axG",@progbits,_ZN9rocsolver6v33100L13conj_in_placeI19rocblas_complex_numIdEiPS3_TnNSt9enable_ifIX18rocblas_is_complexIT_EEiE4typeELi0EEEvT0_S9_T1_lS9_l,comdat
	.globl	_ZN9rocsolver6v33100L13conj_in_placeI19rocblas_complex_numIdEiPS3_TnNSt9enable_ifIX18rocblas_is_complexIT_EEiE4typeELi0EEEvT0_S9_T1_lS9_l ; -- Begin function _ZN9rocsolver6v33100L13conj_in_placeI19rocblas_complex_numIdEiPS3_TnNSt9enable_ifIX18rocblas_is_complexIT_EEiE4typeELi0EEEvT0_S9_T1_lS9_l
	.p2align	8
	.type	_ZN9rocsolver6v33100L13conj_in_placeI19rocblas_complex_numIdEiPS3_TnNSt9enable_ifIX18rocblas_is_complexIT_EEiE4typeELi0EEEvT0_S9_T1_lS9_l,@function
_ZN9rocsolver6v33100L13conj_in_placeI19rocblas_complex_numIdEiPS3_TnNSt9enable_ifIX18rocblas_is_complexIT_EEiE4typeELi0EEEvT0_S9_T1_lS9_l: ; @_ZN9rocsolver6v33100L13conj_in_placeI19rocblas_complex_numIdEiPS3_TnNSt9enable_ifIX18rocblas_is_complexIT_EEiE4typeELi0EEEvT0_S9_T1_lS9_l
; %bb.0:
	s_clause 0x1
	s_load_b32 s5, s[0:1], 0x34
	s_load_b64 s[2:3], s[0:1], 0x0
	s_bfe_u32 s7, ttmp6, 0x40010
	s_bfe_u32 s10, ttmp6, 0x4000c
	s_and_b32 s6, ttmp7, 0xffff
	s_add_co_i32 s7, s7, 1
	s_add_co_i32 s10, s10, 1
	s_bfe_u32 s8, ttmp6, 0x40004
	s_and_b32 s9, ttmp6, 15
	s_mul_i32 s7, s6, s7
	s_mul_i32 s10, ttmp9, s10
	s_getreg_b32 s4, hwreg(HW_REG_IB_STS2, 6, 4)
	v_and_b32_e32 v1, 0x3ff, v0
	v_bfe_u32 v2, v0, 10, 10
	s_add_co_i32 s8, s8, s7
	s_add_co_i32 s9, s9, s10
	s_wait_kmcnt 0x0
	s_lshr_b32 s7, s5, 16
	s_and_b32 s5, s5, 0xffff
	s_cmp_eq_u32 s4, 0
	s_cselect_b32 s9, ttmp9, s9
	s_cselect_b32 s6, s6, s8
	v_mad_u32 v0, s9, s5, v1
	v_mad_u32 v2, s6, s7, v2
	s_delay_alu instid0(VALU_DEP_2) | instskip(NEXT) | instid1(VALU_DEP_2)
	v_cmp_gt_i32_e32 vcc_lo, s2, v0
	v_cmp_gt_i32_e64 s2, s3, v2
	s_mov_b32 s3, 0
	s_and_b32 s2, vcc_lo, s2
	s_delay_alu instid0(SALU_CYCLE_1)
	s_and_saveexec_b32 s5, s2
	s_cbranch_execz .LBB72_2
; %bb.1:
	s_load_b32 s6, s[0:1], 0x18
	v_dual_ashrrev_i32 v3, 31, v2 :: v_dual_ashrrev_i32 v1, 31, v0
	s_clause 0x1
	s_load_b64 s[12:13], s[0:1], 0x20
	s_load_b128 s[8:11], s[0:1], 0x8
	s_wait_xcnt 0x0
	s_bfe_u32 s0, ttmp6, 0x40014
	s_lshr_b32 s1, ttmp7, 16
	s_add_co_i32 s0, s0, 1
	s_bfe_u32 s2, ttmp6, 0x40008
	s_mul_i32 s0, s1, s0
	s_delay_alu instid0(SALU_CYCLE_1)
	s_add_co_i32 s2, s2, s0
	s_wait_kmcnt 0x0
	s_ashr_i32 s7, s6, 31
	s_cmp_eq_u32 s4, 0
	v_mul_u64_e32 v[4:5], s[6:7], v[2:3]
	s_cselect_b32 s2, s1, s2
	s_delay_alu instid0(SALU_CYCLE_1) | instskip(SKIP_2) | instid1(SALU_CYCLE_1)
	s_mul_u64 s[0:1], s[12:13], s[2:3]
	s_lshl_b64 s[2:3], s[10:11], 4
	s_lshl_b64 s[0:1], s[0:1], 4
	s_add_nc_u64 s[0:1], s[8:9], s[0:1]
	s_delay_alu instid0(SALU_CYCLE_1)
	s_add_nc_u64 s[0:1], s[0:1], s[2:3]
	s_delay_alu instid0(VALU_DEP_1) | instid1(SALU_CYCLE_1)
	v_lshl_add_u64 v[4:5], v[4:5], 4, s[0:1]
	s_delay_alu instid0(VALU_DEP_1)
	v_lshl_add_u64 v[4:5], v[0:1], 4, v[4:5]
	v_mad_u32 v0, v2, s6, v0
	global_load_b128 v[4:7], v[4:5], off
	s_wait_loadcnt 0x0
	v_xor_b32_e32 v7, 0x80000000, v7
	global_store_b128 v0, v[4:7], s[0:1] scale_offset
.LBB72_2:
	s_endpgm
	.section	.rodata,"a",@progbits
	.p2align	6, 0x0
	.amdhsa_kernel _ZN9rocsolver6v33100L13conj_in_placeI19rocblas_complex_numIdEiPS3_TnNSt9enable_ifIX18rocblas_is_complexIT_EEiE4typeELi0EEEvT0_S9_T1_lS9_l
		.amdhsa_group_segment_fixed_size 0
		.amdhsa_private_segment_fixed_size 0
		.amdhsa_kernarg_size 296
		.amdhsa_user_sgpr_count 2
		.amdhsa_user_sgpr_dispatch_ptr 0
		.amdhsa_user_sgpr_queue_ptr 0
		.amdhsa_user_sgpr_kernarg_segment_ptr 1
		.amdhsa_user_sgpr_dispatch_id 0
		.amdhsa_user_sgpr_kernarg_preload_length 0
		.amdhsa_user_sgpr_kernarg_preload_offset 0
		.amdhsa_user_sgpr_private_segment_size 0
		.amdhsa_wavefront_size32 1
		.amdhsa_uses_dynamic_stack 0
		.amdhsa_enable_private_segment 0
		.amdhsa_system_sgpr_workgroup_id_x 1
		.amdhsa_system_sgpr_workgroup_id_y 1
		.amdhsa_system_sgpr_workgroup_id_z 1
		.amdhsa_system_sgpr_workgroup_info 0
		.amdhsa_system_vgpr_workitem_id 1
		.amdhsa_next_free_vgpr 8
		.amdhsa_next_free_sgpr 14
		.amdhsa_named_barrier_count 0
		.amdhsa_reserve_vcc 1
		.amdhsa_float_round_mode_32 0
		.amdhsa_float_round_mode_16_64 0
		.amdhsa_float_denorm_mode_32 3
		.amdhsa_float_denorm_mode_16_64 3
		.amdhsa_fp16_overflow 0
		.amdhsa_memory_ordered 1
		.amdhsa_forward_progress 1
		.amdhsa_inst_pref_size 3
		.amdhsa_round_robin_scheduling 0
		.amdhsa_exception_fp_ieee_invalid_op 0
		.amdhsa_exception_fp_denorm_src 0
		.amdhsa_exception_fp_ieee_div_zero 0
		.amdhsa_exception_fp_ieee_overflow 0
		.amdhsa_exception_fp_ieee_underflow 0
		.amdhsa_exception_fp_ieee_inexact 0
		.amdhsa_exception_int_div_zero 0
	.end_amdhsa_kernel
	.section	.text._ZN9rocsolver6v33100L13conj_in_placeI19rocblas_complex_numIdEiPS3_TnNSt9enable_ifIX18rocblas_is_complexIT_EEiE4typeELi0EEEvT0_S9_T1_lS9_l,"axG",@progbits,_ZN9rocsolver6v33100L13conj_in_placeI19rocblas_complex_numIdEiPS3_TnNSt9enable_ifIX18rocblas_is_complexIT_EEiE4typeELi0EEEvT0_S9_T1_lS9_l,comdat
.Lfunc_end72:
	.size	_ZN9rocsolver6v33100L13conj_in_placeI19rocblas_complex_numIdEiPS3_TnNSt9enable_ifIX18rocblas_is_complexIT_EEiE4typeELi0EEEvT0_S9_T1_lS9_l, .Lfunc_end72-_ZN9rocsolver6v33100L13conj_in_placeI19rocblas_complex_numIdEiPS3_TnNSt9enable_ifIX18rocblas_is_complexIT_EEiE4typeELi0EEEvT0_S9_T1_lS9_l
                                        ; -- End function
	.set _ZN9rocsolver6v33100L13conj_in_placeI19rocblas_complex_numIdEiPS3_TnNSt9enable_ifIX18rocblas_is_complexIT_EEiE4typeELi0EEEvT0_S9_T1_lS9_l.num_vgpr, 8
	.set _ZN9rocsolver6v33100L13conj_in_placeI19rocblas_complex_numIdEiPS3_TnNSt9enable_ifIX18rocblas_is_complexIT_EEiE4typeELi0EEEvT0_S9_T1_lS9_l.num_agpr, 0
	.set _ZN9rocsolver6v33100L13conj_in_placeI19rocblas_complex_numIdEiPS3_TnNSt9enable_ifIX18rocblas_is_complexIT_EEiE4typeELi0EEEvT0_S9_T1_lS9_l.numbered_sgpr, 14
	.set _ZN9rocsolver6v33100L13conj_in_placeI19rocblas_complex_numIdEiPS3_TnNSt9enable_ifIX18rocblas_is_complexIT_EEiE4typeELi0EEEvT0_S9_T1_lS9_l.num_named_barrier, 0
	.set _ZN9rocsolver6v33100L13conj_in_placeI19rocblas_complex_numIdEiPS3_TnNSt9enable_ifIX18rocblas_is_complexIT_EEiE4typeELi0EEEvT0_S9_T1_lS9_l.private_seg_size, 0
	.set _ZN9rocsolver6v33100L13conj_in_placeI19rocblas_complex_numIdEiPS3_TnNSt9enable_ifIX18rocblas_is_complexIT_EEiE4typeELi0EEEvT0_S9_T1_lS9_l.uses_vcc, 1
	.set _ZN9rocsolver6v33100L13conj_in_placeI19rocblas_complex_numIdEiPS3_TnNSt9enable_ifIX18rocblas_is_complexIT_EEiE4typeELi0EEEvT0_S9_T1_lS9_l.uses_flat_scratch, 0
	.set _ZN9rocsolver6v33100L13conj_in_placeI19rocblas_complex_numIdEiPS3_TnNSt9enable_ifIX18rocblas_is_complexIT_EEiE4typeELi0EEEvT0_S9_T1_lS9_l.has_dyn_sized_stack, 0
	.set _ZN9rocsolver6v33100L13conj_in_placeI19rocblas_complex_numIdEiPS3_TnNSt9enable_ifIX18rocblas_is_complexIT_EEiE4typeELi0EEEvT0_S9_T1_lS9_l.has_recursion, 0
	.set _ZN9rocsolver6v33100L13conj_in_placeI19rocblas_complex_numIdEiPS3_TnNSt9enable_ifIX18rocblas_is_complexIT_EEiE4typeELi0EEEvT0_S9_T1_lS9_l.has_indirect_call, 0
	.section	.AMDGPU.csdata,"",@progbits
; Kernel info:
; codeLenInByte = 380
; TotalNumSgprs: 16
; NumVgprs: 8
; ScratchSize: 0
; MemoryBound: 0
; FloatMode: 240
; IeeeMode: 1
; LDSByteSize: 0 bytes/workgroup (compile time only)
; SGPRBlocks: 0
; VGPRBlocks: 0
; NumSGPRsForWavesPerEU: 16
; NumVGPRsForWavesPerEU: 8
; NamedBarCnt: 0
; Occupancy: 16
; WaveLimiterHint : 0
; COMPUTE_PGM_RSRC2:SCRATCH_EN: 0
; COMPUTE_PGM_RSRC2:USER_SGPR: 2
; COMPUTE_PGM_RSRC2:TRAP_HANDLER: 0
; COMPUTE_PGM_RSRC2:TGID_X_EN: 1
; COMPUTE_PGM_RSRC2:TGID_Y_EN: 1
; COMPUTE_PGM_RSRC2:TGID_Z_EN: 1
; COMPUTE_PGM_RSRC2:TIDIG_COMP_CNT: 1
	.section	.text._ZN9rocsolver6v33100L16larf_left_kernelILi1024E19rocblas_complex_numIdEiPKPS3_EEvT1_S7_T2_lS7_lPKT0_lS8_lS7_l,"axG",@progbits,_ZN9rocsolver6v33100L16larf_left_kernelILi1024E19rocblas_complex_numIdEiPKPS3_EEvT1_S7_T2_lS7_lPKT0_lS8_lS7_l,comdat
	.globl	_ZN9rocsolver6v33100L16larf_left_kernelILi1024E19rocblas_complex_numIdEiPKPS3_EEvT1_S7_T2_lS7_lPKT0_lS8_lS7_l ; -- Begin function _ZN9rocsolver6v33100L16larf_left_kernelILi1024E19rocblas_complex_numIdEiPKPS3_EEvT1_S7_T2_lS7_lPKT0_lS8_lS7_l
	.p2align	8
	.type	_ZN9rocsolver6v33100L16larf_left_kernelILi1024E19rocblas_complex_numIdEiPKPS3_EEvT1_S7_T2_lS7_lPKT0_lS8_lS7_l,@function
_ZN9rocsolver6v33100L16larf_left_kernelILi1024E19rocblas_complex_numIdEiPKPS3_EEvT1_S7_T2_lS7_lPKT0_lS8_lS7_l: ; @_ZN9rocsolver6v33100L16larf_left_kernelILi1024E19rocblas_complex_numIdEiPKPS3_EEvT1_S7_T2_lS7_lPKT0_lS8_lS7_l
; %bb.0:
	s_clause 0x1
	s_load_b32 s14, s[0:1], 0x48
	s_load_b256 s[4:11], s[0:1], 0x28
	s_bfe_u32 s2, ttmp6, 0x40010
	s_bfe_u32 s13, ttmp6, 0x40014
	s_and_b32 s17, ttmp7, 0xffff
	s_lshr_b32 s12, ttmp7, 16
	s_add_co_i32 s2, s2, 1
	s_add_co_i32 s13, s13, 1
	s_bfe_u32 s3, ttmp6, 0x40004
	s_bfe_u32 s18, ttmp6, 0x40008
	s_mul_i32 s2, s17, s2
	s_mul_i32 s13, s12, s13
	s_getreg_b32 s19, hwreg(HW_REG_IB_STS2, 6, 4)
	s_load_b32 s16, s[0:1], 0x0
	s_add_co_i32 s20, s3, s2
	s_add_co_i32 s18, s18, s13
	v_mov_b64_e32 v[4:5], 0
	v_mov_b64_e32 v[6:7], 0
	s_mov_b32 s13, 0
	v_lshlrev_b32_e32 v2, 4, v0
	s_wait_kmcnt 0x0
	s_ashr_i32 s15, s14, 31
	s_cmp_eq_u32 s19, 0
	s_cselect_b32 s12, s12, s18
	s_load_b64 s[2:3], s[8:9], s12 offset:0x0 scale_offset
	s_wait_xcnt 0x0
	s_cselect_b32 s8, s17, s20
	s_mov_b32 s9, s13
	s_delay_alu instid0(SALU_CYCLE_1)
	s_mul_u64 s[8:9], s[8:9], s[14:15]
	v_cmp_gt_i32_e32 vcc_lo, s16, v0
	s_and_saveexec_b32 s17, vcc_lo
	s_cbranch_execz .LBB73_6
; %bb.1:
	s_clause 0x1
	s_load_b32 s14, s[0:1], 0x18
	s_load_b128 s[20:23], s[0:1], 0x8
	v_dual_mov_b32 v1, 0 :: v_dual_mov_b32 v6, v0
	s_sub_co_i32 s19, 1, s16
	s_wait_kmcnt 0x0
	s_ashr_i32 s15, s14, 31
	s_load_b64 s[0:1], s[20:21], s12 offset:0x0 scale_offset
	v_mul_u64_e32 v[4:5], s[14:15], v[0:1]
	v_cmp_lt_i64_e64 s18, s[14:15], 1
	s_mul_i32 s19, s14, s19
	v_add3_u32 v1, v2, 0, 0x200
	s_delay_alu instid0(VALU_DEP_1)
	v_mov_b32_e32 v3, v1
	s_and_b32 s18, s18, exec_lo
	s_cselect_b32 s18, s19, 0
	s_wait_xcnt 0x0
	s_lshl_b64 s[20:21], s[22:23], 4
	s_ashr_i32 s19, s18, 31
	s_lshl_b64 s[14:15], s[14:15], 14
	s_lshl_b64 s[18:19], s[18:19], 4
	s_wait_kmcnt 0x0
	s_add_nc_u64 s[0:1], s[0:1], s[18:19]
	s_delay_alu instid0(SALU_CYCLE_1) | instskip(NEXT) | instid1(SALU_CYCLE_1)
	s_add_nc_u64 s[0:1], s[0:1], s[20:21]
	v_lshl_add_u64 v[4:5], v[4:5], 4, s[0:1]
	s_mov_b32 s1, s13
.LBB73_2:                               ; =>This Inner Loop Header: Depth=1
	flat_load_b128 v[8:11], v[4:5]
	v_add_nc_u32_e32 v6, 0x400, v6
	s_wait_xcnt 0x0
	v_add_nc_u64_e32 v[4:5], s[14:15], v[4:5]
	s_delay_alu instid0(VALU_DEP_2)
	v_cmp_le_i32_e64 s0, s16, v6
	s_or_b32 s1, s0, s1
	s_wait_loadcnt_dscnt 0x0
	ds_store_2addr_b64 v3, v[8:9], v[10:11] offset1:1
	v_add_nc_u32_e32 v3, 0x4000, v3
	s_and_not1_b32 exec_lo, exec_lo, s1
	s_cbranch_execnz .LBB73_2
; %bb.3:
	s_or_b32 exec_lo, exec_lo, s1
	s_lshl_b64 s[0:1], s[8:9], 4
	s_lshl_b64 s[14:15], s[10:11], 4
	v_dual_mov_b32 v5, 0 :: v_dual_lshlrev_b32 v4, 4, v0
	s_add_nc_u64 s[0:1], s[0:1], s[14:15]
	v_mov_b32_e32 v3, v0
	s_add_nc_u64 s[0:1], s[2:3], s[0:1]
	s_delay_alu instid0(VALU_DEP_2) | instid1(SALU_CYCLE_1)
	v_add_nc_u64_e32 v[6:7], s[0:1], v[4:5]
	v_mov_b64_e32 v[4:5], 0
	s_mov_b32 s1, 0
	s_delay_alu instid0(VALU_DEP_2)
	v_add_nc_u64_e32 v[8:9], 8, v[6:7]
	v_mov_b64_e32 v[6:7], 0
.LBB73_4:                               ; =>This Inner Loop Header: Depth=1
	flat_load_b128 v[10:13], v[8:9] offset:-8
	ds_load_2addr_b64 v[14:17], v1 offset1:1
	v_add_nc_u32_e32 v3, 0x400, v3
	s_wait_xcnt 0x0
	v_add_nc_u64_e32 v[8:9], 0x4000, v[8:9]
	v_add_nc_u32_e32 v1, 0x4000, v1
	s_delay_alu instid0(VALU_DEP_3) | instskip(SKIP_4) | instid1(VALU_DEP_2)
	v_cmp_le_i32_e64 s0, s16, v3
	s_or_b32 s1, s0, s1
	s_wait_loadcnt_dscnt 0x0
	v_mul_f64_e32 v[18:19], v[12:13], v[16:17]
	v_mul_f64_e32 v[12:13], v[12:13], v[14:15]
	v_fmac_f64_e32 v[18:19], v[10:11], v[14:15]
	s_delay_alu instid0(VALU_DEP_2) | instskip(NEXT) | instid1(VALU_DEP_2)
	v_fma_f64 v[10:11], v[10:11], v[16:17], -v[12:13]
	v_add_f64_e32 v[6:7], v[6:7], v[18:19]
	s_delay_alu instid0(VALU_DEP_2)
	v_add_f64_e32 v[4:5], v[4:5], v[10:11]
	s_and_not1_b32 exec_lo, exec_lo, s1
	s_cbranch_execnz .LBB73_4
; %bb.5:
	s_or_b32 exec_lo, exec_lo, s1
.LBB73_6:
	s_delay_alu instid0(SALU_CYCLE_1) | instskip(SKIP_2) | instid1(VALU_DEP_1)
	s_or_b32 exec_lo, exec_lo, s17
	v_mbcnt_lo_u32_b32 v1, -1, 0
	s_mov_b32 s1, exec_lo
	v_cmp_ne_u32_e64 s0, 31, v1
	s_delay_alu instid0(VALU_DEP_1) | instskip(SKIP_1) | instid1(VALU_DEP_2)
	v_add_co_ci_u32_e64 v3, null, 0, v1, s0
	v_cmp_gt_u32_e64 s0, 30, v1
	v_lshlrev_b32_e32 v3, 2, v3
	ds_bpermute_b32 v8, v3, v6
	ds_bpermute_b32 v9, v3, v7
	s_wait_dscnt 0x0
	v_add_f64_e32 v[6:7], v[6:7], v[8:9]
	ds_bpermute_b32 v10, v3, v4
	ds_bpermute_b32 v11, v3, v5
	v_cndmask_b32_e64 v3, 0, 2, s0
	v_cmp_gt_u32_e64 s0, 28, v1
	s_delay_alu instid0(VALU_DEP_2)
	v_add_lshl_u32 v3, v3, v1, 2
	s_wait_dscnt 0x0
	v_add_f64_e32 v[4:5], v[4:5], v[10:11]
	ds_bpermute_b32 v8, v3, v6
	ds_bpermute_b32 v9, v3, v7
	s_wait_dscnt 0x0
	v_add_f64_e32 v[6:7], v[6:7], v[8:9]
	ds_bpermute_b32 v10, v3, v4
	ds_bpermute_b32 v11, v3, v5
	v_cndmask_b32_e64 v3, 0, 4, s0
	v_cmp_gt_u32_e64 s0, 24, v1
	s_delay_alu instid0(VALU_DEP_2)
	v_add_lshl_u32 v3, v3, v1, 2
	s_wait_dscnt 0x0
	v_add_f64_e32 v[4:5], v[4:5], v[10:11]
	ds_bpermute_b32 v8, v3, v6
	ds_bpermute_b32 v9, v3, v7
	s_wait_dscnt 0x0
	v_add_f64_e32 v[6:7], v[6:7], v[8:9]
	ds_bpermute_b32 v10, v3, v4
	ds_bpermute_b32 v11, v3, v5
	v_cndmask_b32_e64 v3, 0, 8, s0
	s_delay_alu instid0(VALU_DEP_1)
	v_add_lshl_u32 v3, v3, v1, 2
	v_lshl_or_b32 v1, v1, 2, 64
	s_wait_dscnt 0x0
	v_add_f64_e32 v[4:5], v[4:5], v[10:11]
	ds_bpermute_b32 v8, v3, v6
	ds_bpermute_b32 v9, v3, v7
	s_wait_dscnt 0x0
	v_add_f64_e32 v[6:7], v[6:7], v[8:9]
	ds_bpermute_b32 v10, v3, v4
	ds_bpermute_b32 v11, v3, v5
	;; [unrolled: 4-line block ×4, first 2 shown]
	s_wait_dscnt 0x0
	v_dual_add_f64 v[6:7], v[8:9], v[10:11] :: v_dual_bitop2_b32 v1, 31, v0 bitop3:0x40
	s_delay_alu instid0(VALU_DEP_1)
	v_cmpx_eq_u32_e32 0, v1
; %bb.7:
	v_lshrrev_b32_e32 v1, 1, v0
	s_delay_alu instid0(VALU_DEP_1)
	v_add_nc_u32_e32 v1, 0, v1
	ds_store_2addr_b64 v1, v[4:5], v[6:7] offset1:1
; %bb.8:
	s_or_b32 exec_lo, exec_lo, s1
	s_delay_alu instid0(SALU_CYCLE_1)
	s_mov_b32 s1, exec_lo
	s_wait_dscnt 0x0
	s_barrier_signal -1
	s_barrier_wait -1
	v_cmpx_eq_u32_e32 0, v0
	s_cbranch_execz .LBB73_10
; %bb.9:
	v_mov_b32_e32 v1, 0
	ds_load_2addr_b64 v[8:11], v1 offset0:2 offset1:3
	ds_load_2addr_b64 v[12:15], v1 offset0:4 offset1:5
	s_wait_dscnt 0x1
	v_add_f64_e32 v[4:5], v[4:5], v[8:9]
	v_add_f64_e32 v[6:7], v[6:7], v[10:11]
	s_wait_dscnt 0x0
	s_delay_alu instid0(VALU_DEP_2) | instskip(NEXT) | instid1(VALU_DEP_2)
	v_add_f64_e32 v[12:13], v[4:5], v[12:13]
	v_add_f64_e32 v[14:15], v[6:7], v[14:15]
	ds_load_2addr_b64 v[4:7], v1 offset0:6 offset1:7
	ds_load_2addr_b64 v[8:11], v1 offset0:8 offset1:9
	s_wait_dscnt 0x1
	v_add_f64_e32 v[4:5], v[12:13], v[4:5]
	v_add_f64_e32 v[6:7], v[14:15], v[6:7]
	s_wait_dscnt 0x0
	s_delay_alu instid0(VALU_DEP_2) | instskip(NEXT) | instid1(VALU_DEP_2)
	v_add_f64_e32 v[12:13], v[4:5], v[8:9]
	v_add_f64_e32 v[14:15], v[6:7], v[10:11]
	;; [unrolled: 9-line block ×15, first 2 shown]
	ds_load_2addr_b64 v[4:7], v1 offset0:62 offset1:63
	s_wait_dscnt 0x0
	v_add_f64_e32 v[4:5], v[8:9], v[4:5]
	v_add_f64_e32 v[6:7], v[10:11], v[6:7]
	ds_store_2addr_b64 v1, v[4:5], v[6:7] offset1:1
.LBB73_10:
	s_or_b32 exec_lo, exec_lo, s1
	s_wait_dscnt 0x0
	s_barrier_signal -1
	s_barrier_wait -1
	s_and_saveexec_b32 s0, vcc_lo
	s_cbranch_execz .LBB73_13
; %bb.11:
	s_mul_u64 s[0:1], s[6:7], s[12:13]
	v_add3_u32 v1, v2, 0, 0x200
	s_lshl_b64 s[0:1], s[0:1], 4
	s_delay_alu instid0(SALU_CYCLE_1)
	s_add_nc_u64 s[0:1], s[4:5], s[0:1]
	s_load_b128 s[4:7], s[0:1], 0x0
	v_mov_b32_e32 v3, 0
	s_wait_xcnt 0x0
	s_lshl_b64 s[0:1], s[8:9], 4
	ds_load_2addr_b64 v[4:7], v3 offset1:1
	s_wait_dscnt 0x0
	s_wait_kmcnt 0x0
	v_mul_f64_e32 v[8:9], s[6:7], v[6:7]
	v_mul_f64_e32 v[10:11], s[6:7], v[4:5]
	s_delay_alu instid0(VALU_DEP_2) | instskip(NEXT) | instid1(VALU_DEP_2)
	v_fma_f64 v[4:5], v[4:5], -s[4:5], -v[8:9]
	v_fma_f64 v[6:7], s[4:5], v[6:7], -v[10:11]
	s_lshl_b64 s[4:5], s[10:11], 4
	s_delay_alu instid0(SALU_CYCLE_1) | instskip(NEXT) | instid1(SALU_CYCLE_1)
	s_add_nc_u64 s[0:1], s[0:1], s[4:5]
	s_add_nc_u64 s[0:1], s[2:3], s[0:1]
	s_delay_alu instid0(SALU_CYCLE_1) | instskip(SKIP_1) | instid1(VALU_DEP_1)
	v_add_nc_u64_e32 v[8:9], s[0:1], v[2:3]
	s_mov_b32 s0, 0
	v_add_nc_u64_e32 v[8:9], 8, v[8:9]
.LBB73_12:                              ; =>This Inner Loop Header: Depth=1
	flat_load_b128 v[10:13], v[8:9] offset:-8
	ds_load_2addr_b64 v[14:17], v1 offset1:1
	v_add_nc_u32_e32 v0, 0x400, v0
	v_add_nc_u32_e32 v1, 0x4000, v1
	s_delay_alu instid0(VALU_DEP_2) | instskip(SKIP_4) | instid1(VALU_DEP_2)
	v_cmp_le_i32_e32 vcc_lo, s16, v0
	s_or_b32 s0, vcc_lo, s0
	s_wait_dscnt 0x0
	v_mul_f64_e32 v[2:3], v[6:7], v[16:17]
	v_mul_f64_e32 v[16:17], v[4:5], v[16:17]
	v_fma_f64 v[2:3], v[4:5], v[14:15], -v[2:3]
	s_delay_alu instid0(VALU_DEP_2) | instskip(SKIP_1) | instid1(VALU_DEP_2)
	v_fmac_f64_e32 v[16:17], v[6:7], v[14:15]
	s_wait_loadcnt 0x0
	v_add_f64_e32 v[10:11], v[10:11], v[2:3]
	s_delay_alu instid0(VALU_DEP_2)
	v_add_f64_e32 v[12:13], v[16:17], v[12:13]
	flat_store_b128 v[8:9], v[10:13] offset:-8
	s_wait_xcnt 0x0
	v_add_nc_u64_e32 v[8:9], 0x4000, v[8:9]
	s_and_not1_b32 exec_lo, exec_lo, s0
	s_cbranch_execnz .LBB73_12
.LBB73_13:
	s_endpgm
	.section	.rodata,"a",@progbits
	.p2align	6, 0x0
	.amdhsa_kernel _ZN9rocsolver6v33100L16larf_left_kernelILi1024E19rocblas_complex_numIdEiPKPS3_EEvT1_S7_T2_lS7_lPKT0_lS8_lS7_l
		.amdhsa_group_segment_fixed_size 0
		.amdhsa_private_segment_fixed_size 0
		.amdhsa_kernarg_size 88
		.amdhsa_user_sgpr_count 2
		.amdhsa_user_sgpr_dispatch_ptr 0
		.amdhsa_user_sgpr_queue_ptr 0
		.amdhsa_user_sgpr_kernarg_segment_ptr 1
		.amdhsa_user_sgpr_dispatch_id 0
		.amdhsa_user_sgpr_kernarg_preload_length 0
		.amdhsa_user_sgpr_kernarg_preload_offset 0
		.amdhsa_user_sgpr_private_segment_size 0
		.amdhsa_wavefront_size32 1
		.amdhsa_uses_dynamic_stack 0
		.amdhsa_enable_private_segment 0
		.amdhsa_system_sgpr_workgroup_id_x 1
		.amdhsa_system_sgpr_workgroup_id_y 1
		.amdhsa_system_sgpr_workgroup_id_z 1
		.amdhsa_system_sgpr_workgroup_info 0
		.amdhsa_system_vgpr_workitem_id 0
		.amdhsa_next_free_vgpr 20
		.amdhsa_next_free_sgpr 24
		.amdhsa_named_barrier_count 0
		.amdhsa_reserve_vcc 1
		.amdhsa_float_round_mode_32 0
		.amdhsa_float_round_mode_16_64 0
		.amdhsa_float_denorm_mode_32 3
		.amdhsa_float_denorm_mode_16_64 3
		.amdhsa_fp16_overflow 0
		.amdhsa_memory_ordered 1
		.amdhsa_forward_progress 1
		.amdhsa_inst_pref_size 16
		.amdhsa_round_robin_scheduling 0
		.amdhsa_exception_fp_ieee_invalid_op 0
		.amdhsa_exception_fp_denorm_src 0
		.amdhsa_exception_fp_ieee_div_zero 0
		.amdhsa_exception_fp_ieee_overflow 0
		.amdhsa_exception_fp_ieee_underflow 0
		.amdhsa_exception_fp_ieee_inexact 0
		.amdhsa_exception_int_div_zero 0
	.end_amdhsa_kernel
	.section	.text._ZN9rocsolver6v33100L16larf_left_kernelILi1024E19rocblas_complex_numIdEiPKPS3_EEvT1_S7_T2_lS7_lPKT0_lS8_lS7_l,"axG",@progbits,_ZN9rocsolver6v33100L16larf_left_kernelILi1024E19rocblas_complex_numIdEiPKPS3_EEvT1_S7_T2_lS7_lPKT0_lS8_lS7_l,comdat
.Lfunc_end73:
	.size	_ZN9rocsolver6v33100L16larf_left_kernelILi1024E19rocblas_complex_numIdEiPKPS3_EEvT1_S7_T2_lS7_lPKT0_lS8_lS7_l, .Lfunc_end73-_ZN9rocsolver6v33100L16larf_left_kernelILi1024E19rocblas_complex_numIdEiPKPS3_EEvT1_S7_T2_lS7_lPKT0_lS8_lS7_l
                                        ; -- End function
	.set _ZN9rocsolver6v33100L16larf_left_kernelILi1024E19rocblas_complex_numIdEiPKPS3_EEvT1_S7_T2_lS7_lPKT0_lS8_lS7_l.num_vgpr, 20
	.set _ZN9rocsolver6v33100L16larf_left_kernelILi1024E19rocblas_complex_numIdEiPKPS3_EEvT1_S7_T2_lS7_lPKT0_lS8_lS7_l.num_agpr, 0
	.set _ZN9rocsolver6v33100L16larf_left_kernelILi1024E19rocblas_complex_numIdEiPKPS3_EEvT1_S7_T2_lS7_lPKT0_lS8_lS7_l.numbered_sgpr, 24
	.set _ZN9rocsolver6v33100L16larf_left_kernelILi1024E19rocblas_complex_numIdEiPKPS3_EEvT1_S7_T2_lS7_lPKT0_lS8_lS7_l.num_named_barrier, 0
	.set _ZN9rocsolver6v33100L16larf_left_kernelILi1024E19rocblas_complex_numIdEiPKPS3_EEvT1_S7_T2_lS7_lPKT0_lS8_lS7_l.private_seg_size, 0
	.set _ZN9rocsolver6v33100L16larf_left_kernelILi1024E19rocblas_complex_numIdEiPKPS3_EEvT1_S7_T2_lS7_lPKT0_lS8_lS7_l.uses_vcc, 1
	.set _ZN9rocsolver6v33100L16larf_left_kernelILi1024E19rocblas_complex_numIdEiPKPS3_EEvT1_S7_T2_lS7_lPKT0_lS8_lS7_l.uses_flat_scratch, 0
	.set _ZN9rocsolver6v33100L16larf_left_kernelILi1024E19rocblas_complex_numIdEiPKPS3_EEvT1_S7_T2_lS7_lPKT0_lS8_lS7_l.has_dyn_sized_stack, 0
	.set _ZN9rocsolver6v33100L16larf_left_kernelILi1024E19rocblas_complex_numIdEiPKPS3_EEvT1_S7_T2_lS7_lPKT0_lS8_lS7_l.has_recursion, 0
	.set _ZN9rocsolver6v33100L16larf_left_kernelILi1024E19rocblas_complex_numIdEiPKPS3_EEvT1_S7_T2_lS7_lPKT0_lS8_lS7_l.has_indirect_call, 0
	.section	.AMDGPU.csdata,"",@progbits
; Kernel info:
; codeLenInByte = 1972
; TotalNumSgprs: 26
; NumVgprs: 20
; ScratchSize: 0
; MemoryBound: 0
; FloatMode: 240
; IeeeMode: 1
; LDSByteSize: 0 bytes/workgroup (compile time only)
; SGPRBlocks: 0
; VGPRBlocks: 1
; NumSGPRsForWavesPerEU: 26
; NumVGPRsForWavesPerEU: 20
; NamedBarCnt: 0
; Occupancy: 16
; WaveLimiterHint : 0
; COMPUTE_PGM_RSRC2:SCRATCH_EN: 0
; COMPUTE_PGM_RSRC2:USER_SGPR: 2
; COMPUTE_PGM_RSRC2:TRAP_HANDLER: 0
; COMPUTE_PGM_RSRC2:TGID_X_EN: 1
; COMPUTE_PGM_RSRC2:TGID_Y_EN: 1
; COMPUTE_PGM_RSRC2:TGID_Z_EN: 1
; COMPUTE_PGM_RSRC2:TIDIG_COMP_CNT: 0
	.section	.text._ZN9rocsolver6v33100L17larf_right_kernelILi1024E19rocblas_complex_numIdEiPKPS3_EEvT1_S7_T2_lS7_lPKT0_lS8_lS7_l,"axG",@progbits,_ZN9rocsolver6v33100L17larf_right_kernelILi1024E19rocblas_complex_numIdEiPKPS3_EEvT1_S7_T2_lS7_lPKT0_lS8_lS7_l,comdat
	.globl	_ZN9rocsolver6v33100L17larf_right_kernelILi1024E19rocblas_complex_numIdEiPKPS3_EEvT1_S7_T2_lS7_lPKT0_lS8_lS7_l ; -- Begin function _ZN9rocsolver6v33100L17larf_right_kernelILi1024E19rocblas_complex_numIdEiPKPS3_EEvT1_S7_T2_lS7_lPKT0_lS8_lS7_l
	.p2align	8
	.type	_ZN9rocsolver6v33100L17larf_right_kernelILi1024E19rocblas_complex_numIdEiPKPS3_EEvT1_S7_T2_lS7_lPKT0_lS8_lS7_l,@function
_ZN9rocsolver6v33100L17larf_right_kernelILi1024E19rocblas_complex_numIdEiPKPS3_EEvT1_S7_T2_lS7_lPKT0_lS8_lS7_l: ; @_ZN9rocsolver6v33100L17larf_right_kernelILi1024E19rocblas_complex_numIdEiPKPS3_EEvT1_S7_T2_lS7_lPKT0_lS8_lS7_l
; %bb.0:
	s_load_b256 s[4:11], s[0:1], 0x28
	s_bfe_u32 s2, ttmp6, 0x40010
	s_and_b32 s3, ttmp7, 0xffff
	s_add_co_i32 s2, s2, 1
	s_bfe_u32 s13, ttmp6, 0x40014
	s_mul_i32 s2, s3, s2
	s_bfe_u32 s12, ttmp6, 0x40004
	s_lshr_b32 s14, ttmp7, 16
	s_add_co_i32 s13, s13, 1
	s_add_co_i32 s17, s12, s2
	s_mul_i32 s2, s14, s13
	s_bfe_u32 s12, ttmp6, 0x40008
	s_load_b32 s16, s[0:1], 0x4
	s_getreg_b32 s13, hwreg(HW_REG_IB_STS2, 6, 4)
	s_add_co_i32 s12, s12, s2
	s_cmp_eq_u32 s13, 0
	v_mov_b64_e32 v[2:3], 0
	s_cselect_b32 s14, s14, s12
	v_mov_b64_e32 v[4:5], 0
	s_load_b32 s2, s[0:1], 0x48
	s_wait_kmcnt 0x0
	s_load_b64 s[12:13], s[8:9], s14 offset:0x0 scale_offset
	v_lshlrev_b32_e32 v8, 4, v0
	s_mov_b32 s15, 0
	s_cselect_b32 s17, s3, s17
	v_cmp_gt_i32_e32 vcc_lo, s16, v0
	s_and_saveexec_b32 s18, vcc_lo
	s_cbranch_execz .LBB74_6
; %bb.1:
	s_wait_xcnt 0x0
	s_clause 0x1
	s_load_b32 s8, s[0:1], 0x18
	s_load_b128 s[20:23], s[0:1], 0x8
	v_add3_u32 v9, v8, 0, 0x200
	v_mov_b32_e32 v1, 0
	s_sub_co_i32 s19, 1, s16
	s_delay_alu instid0(VALU_DEP_2)
	v_dual_mov_b32 v5, v0 :: v_dual_mov_b32 v4, v9
	s_wait_kmcnt 0x0
	s_ashr_i32 s9, s8, 31
	s_load_b64 s[0:1], s[20:21], s14 offset:0x0 scale_offset
	v_mul_u64_e32 v[2:3], s[8:9], v[0:1]
	v_cmp_lt_i64_e64 s3, s[8:9], 1
	s_mul_i32 s19, s8, s19
	s_and_b32 s3, s3, exec_lo
	s_wait_xcnt 0x0
	s_cselect_b32 s20, s19, 0
	s_lshl_b64 s[22:23], s[22:23], 4
	s_ashr_i32 s21, s20, 31
	s_lshl_b64 s[8:9], s[8:9], 14
	s_lshl_b64 s[20:21], s[20:21], 4
	s_wait_kmcnt 0x0
	s_add_nc_u64 s[0:1], s[0:1], s[20:21]
	s_delay_alu instid0(SALU_CYCLE_1) | instskip(NEXT) | instid1(SALU_CYCLE_1)
	s_add_nc_u64 s[0:1], s[0:1], s[22:23]
	v_lshl_add_u64 v[2:3], v[2:3], 4, s[0:1]
	s_mov_b32 s1, s15
.LBB74_2:                               ; =>This Inner Loop Header: Depth=1
	flat_load_b128 v[10:13], v[2:3]
	v_add_nc_u32_e32 v5, 0x400, v5
	s_wait_xcnt 0x0
	v_add_nc_u64_e32 v[2:3], s[8:9], v[2:3]
	s_delay_alu instid0(VALU_DEP_2)
	v_cmp_le_i32_e64 s0, s16, v5
	s_or_b32 s1, s0, s1
	s_wait_loadcnt_dscnt 0x0
	ds_store_2addr_b64 v4, v[10:11], v[12:13] offset1:1
	v_add_nc_u32_e32 v4, 0x4000, v4
	s_and_not1_b32 exec_lo, exec_lo, s1
	s_cbranch_execnz .LBB74_2
; %bb.3:
	s_or_b32 exec_lo, exec_lo, s1
	s_ashr_i32 s3, s2, 31
	s_lshl_b32 s0, s17, 4
	v_mul_u64_e32 v[2:3], s[2:3], v[0:1]
	s_mov_b32 s1, 0
	s_lshl_b64 s[8:9], s[10:11], 4
	s_add_nc_u64 s[20:21], s[12:13], s[0:1]
	v_mov_b32_e32 v1, v0
	s_add_nc_u64 s[8:9], s[20:21], s[8:9]
	s_delay_alu instid0(VALU_DEP_2) | instid1(SALU_CYCLE_1)
	v_lshl_add_u64 v[4:5], v[2:3], 4, s[8:9]
	v_mov_b64_e32 v[2:3], 0
	s_lshl_b64 s[8:9], s[2:3], 14
	s_delay_alu instid0(VALU_DEP_2)
	v_add_nc_u64_e32 v[6:7], 8, v[4:5]
	v_mov_b64_e32 v[4:5], 0
.LBB74_4:                               ; =>This Inner Loop Header: Depth=1
	flat_load_b128 v[10:13], v[6:7] offset:-8
	ds_load_2addr_b64 v[14:17], v9 offset1:1
	v_add_nc_u32_e32 v1, 0x400, v1
	s_wait_xcnt 0x0
	v_add_nc_u64_e32 v[6:7], s[8:9], v[6:7]
	v_add_nc_u32_e32 v9, 0x4000, v9
	s_delay_alu instid0(VALU_DEP_3) | instskip(SKIP_4) | instid1(VALU_DEP_2)
	v_cmp_le_i32_e64 s0, s16, v1
	s_or_b32 s1, s0, s1
	s_wait_loadcnt_dscnt 0x0
	v_mul_f64_e32 v[18:19], v[16:17], v[12:13]
	v_mul_f64_e32 v[12:13], v[14:15], v[12:13]
	v_fma_f64 v[14:15], v[14:15], v[10:11], -v[18:19]
	s_delay_alu instid0(VALU_DEP_2) | instskip(NEXT) | instid1(VALU_DEP_2)
	v_fmac_f64_e32 v[12:13], v[16:17], v[10:11]
	v_add_f64_e32 v[4:5], v[4:5], v[14:15]
	s_delay_alu instid0(VALU_DEP_2)
	v_add_f64_e32 v[2:3], v[2:3], v[12:13]
	s_and_not1_b32 exec_lo, exec_lo, s1
	s_cbranch_execnz .LBB74_4
; %bb.5:
	s_or_b32 exec_lo, exec_lo, s1
.LBB74_6:
	s_delay_alu instid0(SALU_CYCLE_1) | instskip(SKIP_2) | instid1(VALU_DEP_1)
	s_or_b32 exec_lo, exec_lo, s18
	v_mbcnt_lo_u32_b32 v1, -1, 0
	s_mov_b32 s1, exec_lo
	v_cmp_ne_u32_e64 s0, 31, v1
	s_delay_alu instid0(VALU_DEP_1) | instskip(SKIP_1) | instid1(VALU_DEP_2)
	v_add_co_ci_u32_e64 v6, null, 0, v1, s0
	v_cmp_gt_u32_e64 s0, 30, v1
	v_lshlrev_b32_e32 v9, 2, v6
	ds_bpermute_b32 v6, v9, v4
	ds_bpermute_b32 v7, v9, v5
	;; [unrolled: 1-line block ×4, first 2 shown]
	s_wait_dscnt 0x2
	v_add_f64_e32 v[4:5], v[4:5], v[6:7]
	v_cndmask_b32_e64 v6, 0, 2, s0
	s_wait_dscnt 0x0
	v_add_f64_e32 v[2:3], v[2:3], v[10:11]
	v_cmp_gt_u32_e64 s0, 28, v1
	s_delay_alu instid0(VALU_DEP_3)
	v_add_lshl_u32 v9, v6, v1, 2
	ds_bpermute_b32 v6, v9, v4
	ds_bpermute_b32 v7, v9, v5
	;; [unrolled: 1-line block ×4, first 2 shown]
	s_wait_dscnt 0x2
	v_add_f64_e32 v[4:5], v[4:5], v[6:7]
	v_cndmask_b32_e64 v6, 0, 4, s0
	s_wait_dscnt 0x0
	v_add_f64_e32 v[2:3], v[2:3], v[10:11]
	v_cmp_gt_u32_e64 s0, 24, v1
	s_delay_alu instid0(VALU_DEP_3)
	v_add_lshl_u32 v9, v6, v1, 2
	ds_bpermute_b32 v6, v9, v4
	ds_bpermute_b32 v7, v9, v5
	ds_bpermute_b32 v10, v9, v2
	ds_bpermute_b32 v11, v9, v3
	s_wait_dscnt 0x2
	v_add_f64_e32 v[4:5], v[4:5], v[6:7]
	v_cndmask_b32_e64 v6, 0, 8, s0
	s_wait_dscnt 0x0
	v_add_f64_e32 v[2:3], v[2:3], v[10:11]
	s_delay_alu instid0(VALU_DEP_2)
	v_add_lshl_u32 v9, v6, v1, 2
	v_lshl_or_b32 v1, v1, 2, 64
	ds_bpermute_b32 v6, v9, v4
	ds_bpermute_b32 v7, v9, v5
	;; [unrolled: 1-line block ×4, first 2 shown]
	s_wait_dscnt 0x2
	v_add_f64_e32 v[4:5], v[4:5], v[6:7]
	s_wait_dscnt 0x0
	v_add_f64_e32 v[6:7], v[2:3], v[10:11]
	ds_bpermute_b32 v2, v1, v4
	ds_bpermute_b32 v3, v1, v5
	;; [unrolled: 1-line block ×4, first 2 shown]
	s_wait_dscnt 0x2
	v_dual_add_f64 v[2:3], v[4:5], v[2:3] :: v_dual_bitop2_b32 v1, 31, v0 bitop3:0x40
	s_wait_dscnt 0x0
	v_add_f64_e32 v[4:5], v[6:7], v[10:11]
	s_delay_alu instid0(VALU_DEP_2)
	v_cmpx_eq_u32_e32 0, v1
; %bb.7:
	v_lshrrev_b32_e32 v1, 1, v0
	s_delay_alu instid0(VALU_DEP_1)
	v_add_nc_u32_e32 v1, 0, v1
	ds_store_2addr_b64 v1, v[2:3], v[4:5] offset1:1
; %bb.8:
	s_or_b32 exec_lo, exec_lo, s1
	s_delay_alu instid0(SALU_CYCLE_1)
	s_mov_b32 s1, exec_lo
	s_wait_dscnt 0x0
	s_barrier_signal -1
	s_barrier_wait -1
	v_cmpx_eq_u32_e32 0, v0
	s_cbranch_execz .LBB74_10
; %bb.9:
	v_mov_b32_e32 v1, 0
	ds_load_2addr_b64 v[10:13], v1 offset0:2 offset1:3
	ds_load_2addr_b64 v[14:17], v1 offset0:4 offset1:5
	s_wait_dscnt 0x1
	v_add_f64_e32 v[2:3], v[2:3], v[10:11]
	v_add_f64_e32 v[4:5], v[4:5], v[12:13]
	s_wait_dscnt 0x0
	s_delay_alu instid0(VALU_DEP_2) | instskip(NEXT) | instid1(VALU_DEP_2)
	v_add_f64_e32 v[6:7], v[2:3], v[14:15]
	v_add_f64_e32 v[14:15], v[4:5], v[16:17]
	ds_load_2addr_b64 v[2:5], v1 offset0:6 offset1:7
	ds_load_2addr_b64 v[10:13], v1 offset0:8 offset1:9
	s_wait_dscnt 0x1
	v_add_f64_e32 v[2:3], v[6:7], v[2:3]
	v_add_f64_e32 v[4:5], v[14:15], v[4:5]
	s_wait_dscnt 0x0
	s_delay_alu instid0(VALU_DEP_2) | instskip(NEXT) | instid1(VALU_DEP_2)
	v_add_f64_e32 v[6:7], v[2:3], v[10:11]
	v_add_f64_e32 v[14:15], v[4:5], v[12:13]
	;; [unrolled: 9-line block ×15, first 2 shown]
	ds_load_2addr_b64 v[2:5], v1 offset0:62 offset1:63
	s_wait_dscnt 0x0
	v_add_f64_e32 v[2:3], v[6:7], v[2:3]
	v_add_f64_e32 v[4:5], v[10:11], v[4:5]
	ds_store_2addr_b64 v1, v[2:3], v[4:5] offset1:1
.LBB74_10:
	s_or_b32 exec_lo, exec_lo, s1
	s_wait_dscnt 0x0
	s_barrier_signal -1
	s_barrier_wait -1
	s_and_saveexec_b32 s0, vcc_lo
	s_cbranch_execz .LBB74_13
; %bb.11:
	s_mul_u64 s[0:1], s[6:7], s[14:15]
	s_ashr_i32 s3, s2, 31
	s_lshl_b64 s[0:1], s[0:1], 4
	s_delay_alu instid0(SALU_CYCLE_1)
	s_add_nc_u64 s[0:1], s[4:5], s[0:1]
	s_load_b128 s[4:7], s[0:1], 0x0
	v_mov_b32_e32 v1, 0
	s_wait_xcnt 0x0
	s_mov_b32 s1, 0
	s_lshl_b32 s0, s17, 4
	ds_load_2addr_b64 v[4:7], v1 offset1:1
	s_wait_dscnt 0x0
	s_wait_kmcnt 0x0
	v_mul_f64_e32 v[2:3], s[4:5], v[4:5]
	v_mul_f64_e32 v[10:11], s[4:5], v[6:7]
	v_mul_u64_e32 v[12:13], s[2:3], v[0:1]
	s_lshl_b64 s[4:5], s[10:11], 4
	v_add3_u32 v1, v8, 0, 0x200
	s_lshl_b64 s[2:3], s[2:3], 14
	s_delay_alu instid0(VALU_DEP_4) | instskip(NEXT) | instid1(VALU_DEP_4)
	v_fma_f64 v[2:3], s[6:7], v[6:7], -v[2:3]
	v_fma_f64 v[4:5], v[4:5], -s[6:7], -v[10:11]
	s_add_nc_u64 s[6:7], s[12:13], s[0:1]
	s_delay_alu instid0(SALU_CYCLE_1)
	s_add_nc_u64 s[4:5], s[6:7], s[4:5]
	s_delay_alu instid0(VALU_DEP_4) | instid1(SALU_CYCLE_1)
	v_lshl_add_u64 v[6:7], v[12:13], 4, s[4:5]
	s_delay_alu instid0(VALU_DEP_1)
	v_add_nc_u64_e32 v[6:7], 8, v[6:7]
.LBB74_12:                              ; =>This Inner Loop Header: Depth=1
	flat_load_b128 v[8:11], v[6:7] offset:-8
	ds_load_2addr_b64 v[12:15], v1 offset1:1
	v_add_nc_u32_e32 v0, 0x400, v0
	v_add_nc_u32_e32 v1, 0x4000, v1
	s_delay_alu instid0(VALU_DEP_2) | instskip(SKIP_4) | instid1(VALU_DEP_2)
	v_cmp_le_i32_e32 vcc_lo, s16, v0
	s_or_b32 s1, vcc_lo, s1
	s_wait_dscnt 0x0
	v_mul_f64_e32 v[16:17], v[4:5], v[14:15]
	v_mul_f64_e32 v[14:15], v[2:3], v[14:15]
	v_fmac_f64_e32 v[16:17], v[2:3], v[12:13]
	s_delay_alu instid0(VALU_DEP_2) | instskip(SKIP_1) | instid1(VALU_DEP_2)
	v_fma_f64 v[12:13], v[4:5], v[12:13], -v[14:15]
	s_wait_loadcnt 0x0
	v_add_f64_e32 v[8:9], v[8:9], v[16:17]
	s_delay_alu instid0(VALU_DEP_2)
	v_add_f64_e32 v[10:11], v[12:13], v[10:11]
	flat_store_b128 v[6:7], v[8:11] offset:-8
	s_wait_xcnt 0x0
	v_add_nc_u64_e32 v[6:7], s[2:3], v[6:7]
	s_and_not1_b32 exec_lo, exec_lo, s1
	s_cbranch_execnz .LBB74_12
.LBB74_13:
	s_endpgm
	.section	.rodata,"a",@progbits
	.p2align	6, 0x0
	.amdhsa_kernel _ZN9rocsolver6v33100L17larf_right_kernelILi1024E19rocblas_complex_numIdEiPKPS3_EEvT1_S7_T2_lS7_lPKT0_lS8_lS7_l
		.amdhsa_group_segment_fixed_size 0
		.amdhsa_private_segment_fixed_size 0
		.amdhsa_kernarg_size 88
		.amdhsa_user_sgpr_count 2
		.amdhsa_user_sgpr_dispatch_ptr 0
		.amdhsa_user_sgpr_queue_ptr 0
		.amdhsa_user_sgpr_kernarg_segment_ptr 1
		.amdhsa_user_sgpr_dispatch_id 0
		.amdhsa_user_sgpr_kernarg_preload_length 0
		.amdhsa_user_sgpr_kernarg_preload_offset 0
		.amdhsa_user_sgpr_private_segment_size 0
		.amdhsa_wavefront_size32 1
		.amdhsa_uses_dynamic_stack 0
		.amdhsa_enable_private_segment 0
		.amdhsa_system_sgpr_workgroup_id_x 1
		.amdhsa_system_sgpr_workgroup_id_y 1
		.amdhsa_system_sgpr_workgroup_id_z 1
		.amdhsa_system_sgpr_workgroup_info 0
		.amdhsa_system_vgpr_workitem_id 0
		.amdhsa_next_free_vgpr 20
		.amdhsa_next_free_sgpr 24
		.amdhsa_named_barrier_count 0
		.amdhsa_reserve_vcc 1
		.amdhsa_float_round_mode_32 0
		.amdhsa_float_round_mode_16_64 0
		.amdhsa_float_denorm_mode_32 3
		.amdhsa_float_denorm_mode_16_64 3
		.amdhsa_fp16_overflow 0
		.amdhsa_memory_ordered 1
		.amdhsa_forward_progress 1
		.amdhsa_inst_pref_size 16
		.amdhsa_round_robin_scheduling 0
		.amdhsa_exception_fp_ieee_invalid_op 0
		.amdhsa_exception_fp_denorm_src 0
		.amdhsa_exception_fp_ieee_div_zero 0
		.amdhsa_exception_fp_ieee_overflow 0
		.amdhsa_exception_fp_ieee_underflow 0
		.amdhsa_exception_fp_ieee_inexact 0
		.amdhsa_exception_int_div_zero 0
	.end_amdhsa_kernel
	.section	.text._ZN9rocsolver6v33100L17larf_right_kernelILi1024E19rocblas_complex_numIdEiPKPS3_EEvT1_S7_T2_lS7_lPKT0_lS8_lS7_l,"axG",@progbits,_ZN9rocsolver6v33100L17larf_right_kernelILi1024E19rocblas_complex_numIdEiPKPS3_EEvT1_S7_T2_lS7_lPKT0_lS8_lS7_l,comdat
.Lfunc_end74:
	.size	_ZN9rocsolver6v33100L17larf_right_kernelILi1024E19rocblas_complex_numIdEiPKPS3_EEvT1_S7_T2_lS7_lPKT0_lS8_lS7_l, .Lfunc_end74-_ZN9rocsolver6v33100L17larf_right_kernelILi1024E19rocblas_complex_numIdEiPKPS3_EEvT1_S7_T2_lS7_lPKT0_lS8_lS7_l
                                        ; -- End function
	.set _ZN9rocsolver6v33100L17larf_right_kernelILi1024E19rocblas_complex_numIdEiPKPS3_EEvT1_S7_T2_lS7_lPKT0_lS8_lS7_l.num_vgpr, 20
	.set _ZN9rocsolver6v33100L17larf_right_kernelILi1024E19rocblas_complex_numIdEiPKPS3_EEvT1_S7_T2_lS7_lPKT0_lS8_lS7_l.num_agpr, 0
	.set _ZN9rocsolver6v33100L17larf_right_kernelILi1024E19rocblas_complex_numIdEiPKPS3_EEvT1_S7_T2_lS7_lPKT0_lS8_lS7_l.numbered_sgpr, 24
	.set _ZN9rocsolver6v33100L17larf_right_kernelILi1024E19rocblas_complex_numIdEiPKPS3_EEvT1_S7_T2_lS7_lPKT0_lS8_lS7_l.num_named_barrier, 0
	.set _ZN9rocsolver6v33100L17larf_right_kernelILi1024E19rocblas_complex_numIdEiPKPS3_EEvT1_S7_T2_lS7_lPKT0_lS8_lS7_l.private_seg_size, 0
	.set _ZN9rocsolver6v33100L17larf_right_kernelILi1024E19rocblas_complex_numIdEiPKPS3_EEvT1_S7_T2_lS7_lPKT0_lS8_lS7_l.uses_vcc, 1
	.set _ZN9rocsolver6v33100L17larf_right_kernelILi1024E19rocblas_complex_numIdEiPKPS3_EEvT1_S7_T2_lS7_lPKT0_lS8_lS7_l.uses_flat_scratch, 0
	.set _ZN9rocsolver6v33100L17larf_right_kernelILi1024E19rocblas_complex_numIdEiPKPS3_EEvT1_S7_T2_lS7_lPKT0_lS8_lS7_l.has_dyn_sized_stack, 0
	.set _ZN9rocsolver6v33100L17larf_right_kernelILi1024E19rocblas_complex_numIdEiPKPS3_EEvT1_S7_T2_lS7_lPKT0_lS8_lS7_l.has_recursion, 0
	.set _ZN9rocsolver6v33100L17larf_right_kernelILi1024E19rocblas_complex_numIdEiPKPS3_EEvT1_S7_T2_lS7_lPKT0_lS8_lS7_l.has_indirect_call, 0
	.section	.AMDGPU.csdata,"",@progbits
; Kernel info:
; codeLenInByte = 1972
; TotalNumSgprs: 26
; NumVgprs: 20
; ScratchSize: 0
; MemoryBound: 0
; FloatMode: 240
; IeeeMode: 1
; LDSByteSize: 0 bytes/workgroup (compile time only)
; SGPRBlocks: 0
; VGPRBlocks: 1
; NumSGPRsForWavesPerEU: 26
; NumVGPRsForWavesPerEU: 20
; NamedBarCnt: 0
; Occupancy: 16
; WaveLimiterHint : 0
; COMPUTE_PGM_RSRC2:SCRATCH_EN: 0
; COMPUTE_PGM_RSRC2:USER_SGPR: 2
; COMPUTE_PGM_RSRC2:TRAP_HANDLER: 0
; COMPUTE_PGM_RSRC2:TGID_X_EN: 1
; COMPUTE_PGM_RSRC2:TGID_Y_EN: 1
; COMPUTE_PGM_RSRC2:TGID_Z_EN: 1
; COMPUTE_PGM_RSRC2:TIDIG_COMP_CNT: 0
	.section	.text._ZN9rocsolver6v33100L9get_arrayI19rocblas_complex_numIdEiEEvPPT_S5_lT0_,"axG",@progbits,_ZN9rocsolver6v33100L9get_arrayI19rocblas_complex_numIdEiEEvPPT_S5_lT0_,comdat
	.globl	_ZN9rocsolver6v33100L9get_arrayI19rocblas_complex_numIdEiEEvPPT_S5_lT0_ ; -- Begin function _ZN9rocsolver6v33100L9get_arrayI19rocblas_complex_numIdEiEEvPPT_S5_lT0_
	.p2align	8
	.type	_ZN9rocsolver6v33100L9get_arrayI19rocblas_complex_numIdEiEEvPPT_S5_lT0_,@function
_ZN9rocsolver6v33100L9get_arrayI19rocblas_complex_numIdEiEEvPPT_S5_lT0_: ; @_ZN9rocsolver6v33100L9get_arrayI19rocblas_complex_numIdEiEEvPPT_S5_lT0_
; %bb.0:
	s_clause 0x1
	s_load_b32 s2, s[0:1], 0x2c
	s_load_b32 s3, s[0:1], 0x18
	s_bfe_u32 s4, ttmp6, 0x4000c
	s_and_b32 s5, ttmp6, 15
	s_add_co_i32 s4, s4, 1
	s_getreg_b32 s6, hwreg(HW_REG_IB_STS2, 6, 4)
	s_mul_i32 s4, ttmp9, s4
	s_delay_alu instid0(SALU_CYCLE_1) | instskip(SKIP_4) | instid1(SALU_CYCLE_1)
	s_add_co_i32 s5, s5, s4
	s_wait_kmcnt 0x0
	s_and_b32 s2, s2, 0xffff
	s_cmp_eq_u32 s6, 0
	s_cselect_b32 s4, ttmp9, s5
	v_mad_u32 v0, s4, s2, v0
	s_mov_b32 s2, exec_lo
	s_delay_alu instid0(VALU_DEP_1)
	v_cmpx_gt_i32_e64 s3, v0
	s_cbranch_execz .LBB75_2
; %bb.1:
	s_load_b64 s[2:3], s[0:1], 0x10
	v_ashrrev_i32_e32 v1, 31, v0
	s_wait_kmcnt 0x0
	s_delay_alu instid0(VALU_DEP_1) | instskip(SKIP_2) | instid1(VALU_DEP_1)
	v_mul_u64_e32 v[2:3], s[2:3], v[0:1]
	s_load_b128 s[0:3], s[0:1], 0x0
	s_wait_kmcnt 0x0
	v_lshl_add_u64 v[2:3], v[2:3], 4, s[2:3]
	global_store_b64 v0, v[2:3], s[0:1] scale_offset
.LBB75_2:
	s_endpgm
	.section	.rodata,"a",@progbits
	.p2align	6, 0x0
	.amdhsa_kernel _ZN9rocsolver6v33100L9get_arrayI19rocblas_complex_numIdEiEEvPPT_S5_lT0_
		.amdhsa_group_segment_fixed_size 0
		.amdhsa_private_segment_fixed_size 0
		.amdhsa_kernarg_size 288
		.amdhsa_user_sgpr_count 2
		.amdhsa_user_sgpr_dispatch_ptr 0
		.amdhsa_user_sgpr_queue_ptr 0
		.amdhsa_user_sgpr_kernarg_segment_ptr 1
		.amdhsa_user_sgpr_dispatch_id 0
		.amdhsa_user_sgpr_kernarg_preload_length 0
		.amdhsa_user_sgpr_kernarg_preload_offset 0
		.amdhsa_user_sgpr_private_segment_size 0
		.amdhsa_wavefront_size32 1
		.amdhsa_uses_dynamic_stack 0
		.amdhsa_enable_private_segment 0
		.amdhsa_system_sgpr_workgroup_id_x 1
		.amdhsa_system_sgpr_workgroup_id_y 0
		.amdhsa_system_sgpr_workgroup_id_z 0
		.amdhsa_system_sgpr_workgroup_info 0
		.amdhsa_system_vgpr_workitem_id 0
		.amdhsa_next_free_vgpr 4
		.amdhsa_next_free_sgpr 7
		.amdhsa_named_barrier_count 0
		.amdhsa_reserve_vcc 0
		.amdhsa_float_round_mode_32 0
		.amdhsa_float_round_mode_16_64 0
		.amdhsa_float_denorm_mode_32 3
		.amdhsa_float_denorm_mode_16_64 3
		.amdhsa_fp16_overflow 0
		.amdhsa_memory_ordered 1
		.amdhsa_forward_progress 1
		.amdhsa_inst_pref_size 2
		.amdhsa_round_robin_scheduling 0
		.amdhsa_exception_fp_ieee_invalid_op 0
		.amdhsa_exception_fp_denorm_src 0
		.amdhsa_exception_fp_ieee_div_zero 0
		.amdhsa_exception_fp_ieee_overflow 0
		.amdhsa_exception_fp_ieee_underflow 0
		.amdhsa_exception_fp_ieee_inexact 0
		.amdhsa_exception_int_div_zero 0
	.end_amdhsa_kernel
	.section	.text._ZN9rocsolver6v33100L9get_arrayI19rocblas_complex_numIdEiEEvPPT_S5_lT0_,"axG",@progbits,_ZN9rocsolver6v33100L9get_arrayI19rocblas_complex_numIdEiEEvPPT_S5_lT0_,comdat
.Lfunc_end75:
	.size	_ZN9rocsolver6v33100L9get_arrayI19rocblas_complex_numIdEiEEvPPT_S5_lT0_, .Lfunc_end75-_ZN9rocsolver6v33100L9get_arrayI19rocblas_complex_numIdEiEEvPPT_S5_lT0_
                                        ; -- End function
	.set _ZN9rocsolver6v33100L9get_arrayI19rocblas_complex_numIdEiEEvPPT_S5_lT0_.num_vgpr, 4
	.set _ZN9rocsolver6v33100L9get_arrayI19rocblas_complex_numIdEiEEvPPT_S5_lT0_.num_agpr, 0
	.set _ZN9rocsolver6v33100L9get_arrayI19rocblas_complex_numIdEiEEvPPT_S5_lT0_.numbered_sgpr, 7
	.set _ZN9rocsolver6v33100L9get_arrayI19rocblas_complex_numIdEiEEvPPT_S5_lT0_.num_named_barrier, 0
	.set _ZN9rocsolver6v33100L9get_arrayI19rocblas_complex_numIdEiEEvPPT_S5_lT0_.private_seg_size, 0
	.set _ZN9rocsolver6v33100L9get_arrayI19rocblas_complex_numIdEiEEvPPT_S5_lT0_.uses_vcc, 0
	.set _ZN9rocsolver6v33100L9get_arrayI19rocblas_complex_numIdEiEEvPPT_S5_lT0_.uses_flat_scratch, 0
	.set _ZN9rocsolver6v33100L9get_arrayI19rocblas_complex_numIdEiEEvPPT_S5_lT0_.has_dyn_sized_stack, 0
	.set _ZN9rocsolver6v33100L9get_arrayI19rocblas_complex_numIdEiEEvPPT_S5_lT0_.has_recursion, 0
	.set _ZN9rocsolver6v33100L9get_arrayI19rocblas_complex_numIdEiEEvPPT_S5_lT0_.has_indirect_call, 0
	.section	.AMDGPU.csdata,"",@progbits
; Kernel info:
; codeLenInByte = 160
; TotalNumSgprs: 7
; NumVgprs: 4
; ScratchSize: 0
; MemoryBound: 0
; FloatMode: 240
; IeeeMode: 1
; LDSByteSize: 0 bytes/workgroup (compile time only)
; SGPRBlocks: 0
; VGPRBlocks: 0
; NumSGPRsForWavesPerEU: 7
; NumVGPRsForWavesPerEU: 4
; NamedBarCnt: 0
; Occupancy: 16
; WaveLimiterHint : 0
; COMPUTE_PGM_RSRC2:SCRATCH_EN: 0
; COMPUTE_PGM_RSRC2:USER_SGPR: 2
; COMPUTE_PGM_RSRC2:TRAP_HANDLER: 0
; COMPUTE_PGM_RSRC2:TGID_X_EN: 1
; COMPUTE_PGM_RSRC2:TGID_Y_EN: 0
; COMPUTE_PGM_RSRC2:TGID_Z_EN: 0
; COMPUTE_PGM_RSRC2:TIDIG_COMP_CNT: 0
	.section	.text._ZN9rocsolver6v33100L12restore_diagI19rocblas_complex_numIdEidPKPS3_EEvPT1_llT2_lT0_lSA_,"axG",@progbits,_ZN9rocsolver6v33100L12restore_diagI19rocblas_complex_numIdEidPKPS3_EEvPT1_llT2_lT0_lSA_,comdat
	.globl	_ZN9rocsolver6v33100L12restore_diagI19rocblas_complex_numIdEidPKPS3_EEvPT1_llT2_lT0_lSA_ ; -- Begin function _ZN9rocsolver6v33100L12restore_diagI19rocblas_complex_numIdEidPKPS3_EEvPT1_llT2_lT0_lSA_
	.p2align	8
	.type	_ZN9rocsolver6v33100L12restore_diagI19rocblas_complex_numIdEidPKPS3_EEvPT1_llT2_lT0_lSA_,@function
_ZN9rocsolver6v33100L12restore_diagI19rocblas_complex_numIdEidPKPS3_EEvPT1_llT2_lT0_lSA_: ; @_ZN9rocsolver6v33100L12restore_diagI19rocblas_complex_numIdEidPKPS3_EEvPT1_llT2_lT0_lSA_
; %bb.0:
	s_clause 0x1
	s_load_u16 s3, s[0:1], 0x4e
	s_load_b32 s4, s[0:1], 0x38
	s_bfe_u32 s2, ttmp6, 0x40010
	s_bfe_u32 s5, ttmp6, 0x40004
	s_add_co_i32 s2, s2, 1
	v_bfe_u32 v0, v0, 10, 10
	s_mul_i32 s2, ttmp7, s2
	s_delay_alu instid0(SALU_CYCLE_1) | instskip(SKIP_1) | instid1(SALU_CYCLE_1)
	s_add_co_i32 s5, s5, s2
	s_getreg_b32 s2, hwreg(HW_REG_IB_STS2, 6, 4)
	s_cmp_eq_u32 s2, 0
	s_cselect_b32 s5, ttmp7, s5
	s_wait_kmcnt 0x0
	v_mad_u32 v0, s5, s3, v0
	s_mov_b32 s3, exec_lo
	s_delay_alu instid0(VALU_DEP_1)
	v_cmpx_gt_i32_e64 s4, v0
	s_cbranch_execz .LBB76_2
; %bb.1:
	s_load_b256 s[4:11], s[0:1], 0x0
	s_bfe_u32 s3, ttmp6, 0x4000c
	s_and_b32 s12, ttmp6, 15
	s_add_co_i32 s3, s3, 1
	v_mov_b32_e32 v4, 0
	s_mul_i32 s3, ttmp9, s3
	s_delay_alu instid0(SALU_CYCLE_1) | instskip(SKIP_1) | instid1(VALU_DEP_1)
	s_add_co_i32 s12, s12, s3
	s_cmp_eq_u32 s2, 0
	v_mov_b32_e32 v5, v4
	s_cselect_b32 s12, ttmp9, s12
	s_delay_alu instid0(SALU_CYCLE_1) | instskip(SKIP_2) | instid1(SALU_CYCLE_1)
	s_ashr_i32 s13, s12, 31
	s_wait_kmcnt 0x0
	s_mul_u64 s[2:3], s[8:9], s[12:13]
	s_lshl_b64 s[2:3], s[2:3], 3
	s_delay_alu instid0(SALU_CYCLE_1) | instskip(SKIP_1) | instid1(SALU_CYCLE_1)
	s_add_nc_u64 s[2:3], s[4:5], s[2:3]
	s_lshl_b64 s[4:5], s[6:7], 3
	s_add_nc_u64 s[2:3], s[2:3], s[4:5]
	s_lshl_b64 s[4:5], s[12:13], 3
	global_load_b64 v[2:3], v0, s[2:3] scale_offset
	s_wait_xcnt 0x0
	s_load_b96 s[0:2], s[0:1], 0x20
	s_add_nc_u64 s[4:5], s[10:11], s[4:5]
	s_load_b64 s[4:5], s[4:5], 0x0
	s_wait_kmcnt 0x0
	v_mad_u32 v0, v0, s2, v0
	s_lshl_b64 s[0:1], s[0:1], 4
	s_delay_alu instid0(SALU_CYCLE_1)
	s_add_nc_u64 s[0:1], s[4:5], s[0:1]
	s_wait_loadcnt 0x0
	flat_store_b128 v0, v[2:5], s[0:1] scale_offset
.LBB76_2:
	s_endpgm
	.section	.rodata,"a",@progbits
	.p2align	6, 0x0
	.amdhsa_kernel _ZN9rocsolver6v33100L12restore_diagI19rocblas_complex_numIdEidPKPS3_EEvPT1_llT2_lT0_lSA_
		.amdhsa_group_segment_fixed_size 0
		.amdhsa_private_segment_fixed_size 0
		.amdhsa_kernarg_size 320
		.amdhsa_user_sgpr_count 2
		.amdhsa_user_sgpr_dispatch_ptr 0
		.amdhsa_user_sgpr_queue_ptr 0
		.amdhsa_user_sgpr_kernarg_segment_ptr 1
		.amdhsa_user_sgpr_dispatch_id 0
		.amdhsa_user_sgpr_kernarg_preload_length 0
		.amdhsa_user_sgpr_kernarg_preload_offset 0
		.amdhsa_user_sgpr_private_segment_size 0
		.amdhsa_wavefront_size32 1
		.amdhsa_uses_dynamic_stack 0
		.amdhsa_enable_private_segment 0
		.amdhsa_system_sgpr_workgroup_id_x 1
		.amdhsa_system_sgpr_workgroup_id_y 1
		.amdhsa_system_sgpr_workgroup_id_z 0
		.amdhsa_system_sgpr_workgroup_info 0
		.amdhsa_system_vgpr_workitem_id 1
		.amdhsa_next_free_vgpr 6
		.amdhsa_next_free_sgpr 14
		.amdhsa_named_barrier_count 0
		.amdhsa_reserve_vcc 0
		.amdhsa_float_round_mode_32 0
		.amdhsa_float_round_mode_16_64 0
		.amdhsa_float_denorm_mode_32 3
		.amdhsa_float_denorm_mode_16_64 3
		.amdhsa_fp16_overflow 0
		.amdhsa_memory_ordered 1
		.amdhsa_forward_progress 1
		.amdhsa_inst_pref_size 3
		.amdhsa_round_robin_scheduling 0
		.amdhsa_exception_fp_ieee_invalid_op 0
		.amdhsa_exception_fp_denorm_src 0
		.amdhsa_exception_fp_ieee_div_zero 0
		.amdhsa_exception_fp_ieee_overflow 0
		.amdhsa_exception_fp_ieee_underflow 0
		.amdhsa_exception_fp_ieee_inexact 0
		.amdhsa_exception_int_div_zero 0
	.end_amdhsa_kernel
	.section	.text._ZN9rocsolver6v33100L12restore_diagI19rocblas_complex_numIdEidPKPS3_EEvPT1_llT2_lT0_lSA_,"axG",@progbits,_ZN9rocsolver6v33100L12restore_diagI19rocblas_complex_numIdEidPKPS3_EEvPT1_llT2_lT0_lSA_,comdat
.Lfunc_end76:
	.size	_ZN9rocsolver6v33100L12restore_diagI19rocblas_complex_numIdEidPKPS3_EEvPT1_llT2_lT0_lSA_, .Lfunc_end76-_ZN9rocsolver6v33100L12restore_diagI19rocblas_complex_numIdEidPKPS3_EEvPT1_llT2_lT0_lSA_
                                        ; -- End function
	.set _ZN9rocsolver6v33100L12restore_diagI19rocblas_complex_numIdEidPKPS3_EEvPT1_llT2_lT0_lSA_.num_vgpr, 6
	.set _ZN9rocsolver6v33100L12restore_diagI19rocblas_complex_numIdEidPKPS3_EEvPT1_llT2_lT0_lSA_.num_agpr, 0
	.set _ZN9rocsolver6v33100L12restore_diagI19rocblas_complex_numIdEidPKPS3_EEvPT1_llT2_lT0_lSA_.numbered_sgpr, 14
	.set _ZN9rocsolver6v33100L12restore_diagI19rocblas_complex_numIdEidPKPS3_EEvPT1_llT2_lT0_lSA_.num_named_barrier, 0
	.set _ZN9rocsolver6v33100L12restore_diagI19rocblas_complex_numIdEidPKPS3_EEvPT1_llT2_lT0_lSA_.private_seg_size, 0
	.set _ZN9rocsolver6v33100L12restore_diagI19rocblas_complex_numIdEidPKPS3_EEvPT1_llT2_lT0_lSA_.uses_vcc, 0
	.set _ZN9rocsolver6v33100L12restore_diagI19rocblas_complex_numIdEidPKPS3_EEvPT1_llT2_lT0_lSA_.uses_flat_scratch, 0
	.set _ZN9rocsolver6v33100L12restore_diagI19rocblas_complex_numIdEidPKPS3_EEvPT1_llT2_lT0_lSA_.has_dyn_sized_stack, 0
	.set _ZN9rocsolver6v33100L12restore_diagI19rocblas_complex_numIdEidPKPS3_EEvPT1_llT2_lT0_lSA_.has_recursion, 0
	.set _ZN9rocsolver6v33100L12restore_diagI19rocblas_complex_numIdEidPKPS3_EEvPT1_llT2_lT0_lSA_.has_indirect_call, 0
	.section	.AMDGPU.csdata,"",@progbits
; Kernel info:
; codeLenInByte = 276
; TotalNumSgprs: 14
; NumVgprs: 6
; ScratchSize: 0
; MemoryBound: 0
; FloatMode: 240
; IeeeMode: 1
; LDSByteSize: 0 bytes/workgroup (compile time only)
; SGPRBlocks: 0
; VGPRBlocks: 0
; NumSGPRsForWavesPerEU: 14
; NumVGPRsForWavesPerEU: 6
; NamedBarCnt: 0
; Occupancy: 16
; WaveLimiterHint : 1
; COMPUTE_PGM_RSRC2:SCRATCH_EN: 0
; COMPUTE_PGM_RSRC2:USER_SGPR: 2
; COMPUTE_PGM_RSRC2:TRAP_HANDLER: 0
; COMPUTE_PGM_RSRC2:TGID_X_EN: 1
; COMPUTE_PGM_RSRC2:TGID_Y_EN: 1
; COMPUTE_PGM_RSRC2:TGID_Z_EN: 0
; COMPUTE_PGM_RSRC2:TIDIG_COMP_CNT: 1
	.section	.text._ZN9rocsolver6v33100L14set_triangularI19rocblas_complex_numIdEPKPS3_TnNSt9enable_ifIX18rocblas_is_complexIT_EEiE4typeELi0EEEviiT0_iilPS8_lSC_il15rocblas_direct_15rocblas_storev_b,"axG",@progbits,_ZN9rocsolver6v33100L14set_triangularI19rocblas_complex_numIdEPKPS3_TnNSt9enable_ifIX18rocblas_is_complexIT_EEiE4typeELi0EEEviiT0_iilPS8_lSC_il15rocblas_direct_15rocblas_storev_b,comdat
	.globl	_ZN9rocsolver6v33100L14set_triangularI19rocblas_complex_numIdEPKPS3_TnNSt9enable_ifIX18rocblas_is_complexIT_EEiE4typeELi0EEEviiT0_iilPS8_lSC_il15rocblas_direct_15rocblas_storev_b ; -- Begin function _ZN9rocsolver6v33100L14set_triangularI19rocblas_complex_numIdEPKPS3_TnNSt9enable_ifIX18rocblas_is_complexIT_EEiE4typeELi0EEEviiT0_iilPS8_lSC_il15rocblas_direct_15rocblas_storev_b
	.p2align	8
	.type	_ZN9rocsolver6v33100L14set_triangularI19rocblas_complex_numIdEPKPS3_TnNSt9enable_ifIX18rocblas_is_complexIT_EEiE4typeELi0EEEviiT0_iilPS8_lSC_il15rocblas_direct_15rocblas_storev_b,@function
_ZN9rocsolver6v33100L14set_triangularI19rocblas_complex_numIdEPKPS3_TnNSt9enable_ifIX18rocblas_is_complexIT_EEiE4typeELi0EEEviiT0_iilPS8_lSC_il15rocblas_direct_15rocblas_storev_b: ; @_ZN9rocsolver6v33100L14set_triangularI19rocblas_complex_numIdEPKPS3_TnNSt9enable_ifIX18rocblas_is_complexIT_EEiE4typeELi0EEEviiT0_iilPS8_lSC_il15rocblas_direct_15rocblas_storev_b
; %bb.0:
	s_clause 0x1
	s_load_b32 s3, s[0:1], 0x64
	s_load_b64 s[18:19], s[0:1], 0x0
	s_bfe_u32 s5, ttmp6, 0x40010
	s_bfe_u32 s8, ttmp6, 0x4000c
	s_and_b32 s4, ttmp7, 0xffff
	s_add_co_i32 s5, s5, 1
	s_add_co_i32 s8, s8, 1
	s_bfe_u32 s6, ttmp6, 0x40004
	s_and_b32 s7, ttmp6, 15
	s_mul_i32 s5, s4, s5
	s_mul_i32 s8, ttmp9, s8
	s_getreg_b32 s2, hwreg(HW_REG_IB_STS2, 6, 4)
	v_and_b32_e32 v1, 0x3ff, v0
	v_bfe_u32 v0, v0, 10, 10
	s_add_co_i32 s6, s6, s5
	s_add_co_i32 s7, s7, s8
	s_mov_b32 s21, 0
	s_wait_kmcnt 0x0
	s_lshr_b32 s5, s3, 16
	s_and_b32 s3, s3, 0xffff
	s_cmp_eq_u32 s2, 0
	s_cselect_b32 s7, ttmp9, s7
	s_cselect_b32 s4, s4, s6
	v_mad_u32 v6, s7, s3, v1
	v_mad_u32 v0, s4, s5, v0
	s_mov_b32 s3, exec_lo
	s_delay_alu instid0(VALU_DEP_1) | instskip(NEXT) | instid1(VALU_DEP_1)
	v_max_u32_e32 v1, v6, v0
	v_cmpx_gt_u32_e64 s19, v1
	s_cbranch_execz .LBB77_36
; %bb.1:
	s_clause 0x2
	s_load_b128 s[4:7], s[0:1], 0x20
	s_load_b64 s[12:13], s[0:1], 0x40
	s_load_b96 s[8:10], s[0:1], 0x30
	s_bfe_u32 s3, ttmp6, 0x40014
	s_lshr_b32 s11, ttmp7, 16
	s_add_co_i32 s3, s3, 1
	s_bfe_u32 s14, ttmp6, 0x40008
	s_mul_i32 s3, s11, s3
	s_delay_alu instid0(SALU_CYCLE_1)
	s_add_co_i32 s14, s14, s3
	s_cmp_eq_u32 s2, 0
	s_cselect_b32 s20, s11, s14
	s_wait_kmcnt 0x0
	s_mul_u64 s[2:3], s[6:7], s[20:21]
	s_mul_u64 s[6:7], s[12:13], s[20:21]
	s_lshl_b64 s[2:3], s[2:3], 4
	s_lshl_b64 s[6:7], s[6:7], 4
	s_add_nc_u64 s[16:17], s[4:5], s[2:3]
	s_add_nc_u64 s[2:3], s[8:9], s[6:7]
	s_mov_b32 s4, exec_lo
	v_cmpx_ne_u32_e64 v0, v6
	s_xor_b32 s8, exec_lo, s4
	s_cbranch_execz .LBB77_34
; %bb.2:
	s_clause 0x1
	s_load_b128 s[4:7], s[0:1], 0x8
	s_load_b96 s[12:14], s[0:1], 0x48
	v_mov_b32_e32 v7, 0
	s_wait_kmcnt 0x0
	s_load_b64 s[0:1], s[4:5], s20 offset:0x0 scale_offset
	s_wait_xcnt 0x0
	s_ashr_i32 s5, s6, 31
	s_mov_b32 s4, s6
	s_delay_alu instid0(SALU_CYCLE_1) | instskip(SKIP_3) | instid1(SALU_CYCLE_1)
	s_lshl_b64 s[20:21], s[4:5], 4
	s_bitcmp1_b32 s14, 0
	s_mov_b32 s5, -1
	s_cselect_b32 s4, -1, 0
	s_xor_b32 s4, s4, -1
	s_cmp_lg_u32 s12, 0xab
	s_wait_kmcnt 0x0
	s_add_nc_u64 s[0:1], s[0:1], s[20:21]
	s_cbranch_scc0 .LBB77_18
; %bb.3:
	s_mov_b32 s5, exec_lo
	v_cmpx_le_u32_e64 v0, v6
	s_xor_b32 s5, exec_lo, s5
	s_cbranch_execz .LBB77_5
; %bb.4:
	s_ashr_i32 s15, s10, 31
	s_mov_b32 s14, s10
	v_mov_b32_e32 v1, 0
	v_mul_u64_e32 v[2:3], s[14:15], v[6:7]
	s_delay_alu instid0(VALU_DEP_2) | instskip(NEXT) | instid1(VALU_DEP_2)
	v_dual_mov_b32 v4, v1 :: v_dual_mov_b32 v5, v1
	v_lshl_add_u64 v[8:9], v[2:3], 4, s[2:3]
	v_dual_mov_b32 v2, v1 :: v_dual_mov_b32 v3, v1
	s_delay_alu instid0(VALU_DEP_2)
	v_lshl_add_u64 v[8:9], v[0:1], 4, v[8:9]
	global_store_b128 v[8:9], v[2:5], off
.LBB77_5:
	s_wait_xcnt 0x0
	s_and_not1_saveexec_b32 s5, s5
	s_cbranch_execz .LBB77_17
; %bb.6:
	v_lshl_add_u64 v[2:3], v[6:7], 4, s[16:17]
	s_cmp_lg_u32 s13, 0xb5
	s_mov_b32 s6, -1
	global_load_b128 v[2:5], v[2:3], off
	s_cbranch_scc0 .LBB77_12
; %bb.7:
	v_mov_b32_e32 v1, 0
	s_and_not1_b32 vcc_lo, exec_lo, s4
	s_delay_alu instid0(VALU_DEP_1)
	v_lshlrev_b64_e32 v[8:9], 4, v[0:1]
	s_cbranch_vccnz .LBB77_9
; %bb.8:
	s_sub_co_i32 s6, s18, s19
	s_delay_alu instid0(SALU_CYCLE_1) | instskip(SKIP_3) | instid1(VALU_DEP_1)
	v_dual_mov_b32 v11, v1 :: v_dual_add_nc_u32 v10, s6, v6
	s_ashr_i32 s15, s7, 31
	s_mov_b32 s14, s7
	s_mov_b32 s6, 0
	v_mul_u64_e32 v[10:11], s[14:15], v[10:11]
	s_ashr_i32 s15, s10, 31
	s_mov_b32 s14, s10
	s_delay_alu instid0(SALU_CYCLE_1) | instskip(NEXT) | instid1(VALU_DEP_2)
	v_mul_u64_e32 v[18:19], s[14:15], v[6:7]
	v_lshl_add_u64 v[10:11], v[10:11], 4, s[0:1]
	s_delay_alu instid0(VALU_DEP_1) | instskip(SKIP_4) | instid1(VALU_DEP_2)
	v_add_nc_u64_e32 v[10:11], v[10:11], v[8:9]
	flat_load_b128 v[10:13], v[10:11]
	s_wait_loadcnt_dscnt 0x0
	v_mul_f64_e32 v[14:15], v[2:3], v[10:11]
	v_mul_f64_e32 v[16:17], v[2:3], v[12:13]
	v_fma_f64 v[12:13], v[4:5], v[12:13], -v[14:15]
	s_delay_alu instid0(VALU_DEP_2) | instskip(SKIP_2) | instid1(VALU_DEP_1)
	v_fma_f64 v[14:15], v[10:11], -v[4:5], -v[16:17]
	s_wait_xcnt 0x0
	v_lshl_add_u64 v[10:11], v[18:19], 4, s[2:3]
	v_add_nc_u64_e32 v[10:11], v[10:11], v[8:9]
	global_store_b128 v[10:11], v[12:15], off
.LBB77_9:
	s_and_not1_b32 vcc_lo, exec_lo, s6
	s_cbranch_vccnz .LBB77_11
; %bb.10:
	s_sub_co_i32 s6, s18, s19
	s_ashr_i32 s15, s10, 31
	s_wait_xcnt 0x0
	v_dual_mov_b32 v11, 0 :: v_dual_add_nc_u32 v10, s6, v6
	s_mov_b32 s14, s10
	s_ashr_i32 s21, s7, 31
	s_mov_b32 s20, s7
	v_mul_u64_e32 v[12:13], s[14:15], v[6:7]
	v_mul_u64_e32 v[10:11], s[20:21], v[10:11]
	s_delay_alu instid0(VALU_DEP_2) | instskip(NEXT) | instid1(VALU_DEP_2)
	v_lshl_add_u64 v[12:13], v[12:13], 4, s[2:3]
	v_lshl_add_u64 v[10:11], v[10:11], 4, s[0:1]
	s_delay_alu instid0(VALU_DEP_2) | instskip(NEXT) | instid1(VALU_DEP_2)
	v_add_nc_u64_e32 v[16:17], v[12:13], v[8:9]
	v_add_nc_u64_e32 v[18:19], v[10:11], v[8:9]
	global_load_b128 v[8:11], v[16:17], off
	flat_load_b128 v[12:15], v[18:19]
	s_wait_loadcnt_dscnt 0x0
	v_add_f64_e32 v[12:13], v[12:13], v[8:9]
	v_add_f64_e32 v[8:9], v[14:15], v[10:11]
	s_delay_alu instid0(VALU_DEP_2) | instskip(NEXT) | instid1(VALU_DEP_2)
	v_mul_f64_e32 v[10:11], v[2:3], v[12:13]
	v_mul_f64_e32 v[14:15], v[2:3], v[8:9]
	s_delay_alu instid0(VALU_DEP_2) | instskip(NEXT) | instid1(VALU_DEP_2)
	v_fma_f64 v[8:9], v[4:5], v[8:9], -v[10:11]
	v_fma_f64 v[10:11], v[12:13], -v[4:5], -v[14:15]
	global_store_b128 v[16:17], v[8:11], off
.LBB77_11:
	s_mov_b32 s6, 0
.LBB77_12:
	s_delay_alu instid0(SALU_CYCLE_1)
	s_and_not1_b32 vcc_lo, exec_lo, s6
	s_cbranch_vccnz .LBB77_17
; %bb.13:
	s_and_not1_b32 vcc_lo, exec_lo, s4
	s_mov_b32 s6, -1
	s_cbranch_vccnz .LBB77_15
; %bb.14:
	s_sub_co_i32 s6, s18, s19
	s_wait_xcnt 0x0
	v_dual_mov_b32 v9, 0 :: v_dual_add_nc_u32 v8, s6, v6
	s_ashr_i32 s15, s7, 31
	s_mov_b32 s14, s7
	s_mov_b32 s6, 0
	s_delay_alu instid0(VALU_DEP_1) | instskip(NEXT) | instid1(VALU_DEP_1)
	v_mov_b32_e32 v1, v9
	v_mul_u64_e32 v[10:11], s[14:15], v[0:1]
	s_ashr_i32 s15, s10, 31
	s_mov_b32 s14, s10
	s_delay_alu instid0(SALU_CYCLE_1) | instskip(NEXT) | instid1(VALU_DEP_2)
	v_mul_u64_e32 v[16:17], s[14:15], v[6:7]
	v_lshl_add_u64 v[10:11], v[10:11], 4, s[0:1]
	s_delay_alu instid0(VALU_DEP_1)
	v_lshl_add_u64 v[8:9], v[8:9], 4, v[10:11]
	flat_load_b128 v[8:11], v[8:9]
	s_wait_loadcnt_dscnt 0x0
	v_mul_f64_e32 v[12:13], v[4:5], v[10:11]
	v_mul_f64_e32 v[14:15], v[4:5], v[8:9]
	s_wait_xcnt 0x0
	s_delay_alu instid0(VALU_DEP_2) | instskip(NEXT) | instid1(VALU_DEP_2)
	v_fma_f64 v[8:9], v[8:9], -v[2:3], -v[12:13]
	v_fma_f64 v[10:11], v[2:3], v[10:11], -v[14:15]
	v_lshl_add_u64 v[12:13], v[16:17], 4, s[2:3]
	s_delay_alu instid0(VALU_DEP_1)
	v_lshl_add_u64 v[12:13], v[0:1], 4, v[12:13]
	global_store_b128 v[12:13], v[8:11], off
.LBB77_15:
	s_and_not1_b32 vcc_lo, exec_lo, s6
	s_cbranch_vccnz .LBB77_17
; %bb.16:
	s_sub_co_i32 s6, s18, s19
	s_wait_xcnt 0x0
	v_dual_mov_b32 v1, 0 :: v_dual_add_nc_u32 v12, s6, v6
	s_ashr_i32 s15, s10, 31
	s_mov_b32 s14, s10
	s_ashr_i32 s21, s7, 31
	s_mov_b32 s20, s7
	v_mul_u64_e32 v[8:9], s[14:15], v[6:7]
	v_mul_u64_e32 v[10:11], s[20:21], v[0:1]
	v_mov_b32_e32 v13, v1
	s_delay_alu instid0(VALU_DEP_3) | instskip(NEXT) | instid1(VALU_DEP_3)
	v_lshl_add_u64 v[8:9], v[8:9], 4, s[2:3]
	v_lshl_add_u64 v[10:11], v[10:11], 4, s[0:1]
	s_delay_alu instid0(VALU_DEP_2) | instskip(NEXT) | instid1(VALU_DEP_2)
	v_lshl_add_u64 v[16:17], v[0:1], 4, v[8:9]
	v_lshl_add_u64 v[18:19], v[12:13], 4, v[10:11]
	global_load_b128 v[8:11], v[16:17], off
	flat_load_b128 v[12:15], v[18:19]
	s_wait_loadcnt_dscnt 0x0
	v_add_f64_e32 v[8:9], v[12:13], v[8:9]
	v_add_f64_e64 v[10:11], v[10:11], -v[14:15]
	s_delay_alu instid0(VALU_DEP_2) | instskip(NEXT) | instid1(VALU_DEP_2)
	v_mul_f64_e32 v[12:13], v[2:3], v[8:9]
	v_mul_f64_e32 v[14:15], v[2:3], v[10:11]
	s_delay_alu instid0(VALU_DEP_2) | instskip(NEXT) | instid1(VALU_DEP_2)
	v_fma_f64 v[2:3], v[4:5], v[10:11], -v[12:13]
	v_fma_f64 v[4:5], v[8:9], -v[4:5], -v[14:15]
	global_store_b128 v[16:17], v[2:5], off
.LBB77_17:
	s_wait_xcnt 0x0
	s_or_b32 exec_lo, exec_lo, s5
	s_mov_b32 s5, 0
.LBB77_18:
	s_delay_alu instid0(SALU_CYCLE_1)
	s_and_not1_b32 vcc_lo, exec_lo, s5
	s_cbranch_vccnz .LBB77_34
; %bb.19:
	s_mov_b32 s5, exec_lo
	v_cmpx_ge_u32_e64 v0, v6
	s_xor_b32 s5, exec_lo, s5
	s_cbranch_execz .LBB77_21
; %bb.20:
	s_ashr_i32 s15, s10, 31
	s_mov_b32 s14, s10
	v_mov_b32_e32 v1, 0
	s_wait_loadcnt 0x0
	v_mul_u64_e32 v[2:3], s[14:15], v[6:7]
                                        ; implicit-def: $vgpr6_vgpr7
	s_delay_alu instid0(VALU_DEP_1) | instskip(NEXT) | instid1(VALU_DEP_3)
	v_lshl_add_u64 v[4:5], v[2:3], 4, s[2:3]
	v_dual_mov_b32 v2, v1 :: v_dual_mov_b32 v3, v1
	s_delay_alu instid0(VALU_DEP_2)
	v_lshl_add_u64 v[4:5], v[0:1], 4, v[4:5]
	v_mov_b32_e32 v0, v1
	global_store_b128 v[4:5], v[0:3], off
                                        ; implicit-def: $vgpr0
.LBB77_21:
	s_wait_xcnt 0x0
	s_and_not1_saveexec_b32 s5, s5
	s_cbranch_execz .LBB77_33
; %bb.22:
	s_wait_loadcnt 0x0
	v_lshl_add_u64 v[2:3], v[6:7], 4, s[16:17]
	v_cndmask_b32_e64 v1, 0, 1, s4
	s_cmp_lg_u32 s13, 0xb5
	s_mov_b32 s6, -1
	global_load_b128 v[2:5], v[2:3], off
	v_cmp_ne_u32_e32 vcc_lo, 1, v1
	s_cbranch_scc0 .LBB77_28
; %bb.23:
	v_mov_b32_e32 v1, 0
	s_and_b32 vcc_lo, exec_lo, vcc_lo
	s_delay_alu instid0(VALU_DEP_1)
	v_lshlrev_b64_e32 v[8:9], 4, v[0:1]
	s_cbranch_vccnz .LBB77_25
; %bb.24:
	s_ashr_i32 s13, s7, 31
	s_mov_b32 s12, s7
	s_mov_b32 s6, 0
	v_mul_u64_e32 v[10:11], s[12:13], v[6:7]
	s_ashr_i32 s13, s10, 31
	s_mov_b32 s12, s10
	s_delay_alu instid0(SALU_CYCLE_1) | instskip(NEXT) | instid1(VALU_DEP_2)
	v_mul_u64_e32 v[18:19], s[12:13], v[6:7]
	v_lshl_add_u64 v[10:11], v[10:11], 4, s[0:1]
	s_delay_alu instid0(VALU_DEP_1) | instskip(SKIP_4) | instid1(VALU_DEP_2)
	v_add_nc_u64_e32 v[10:11], v[10:11], v[8:9]
	flat_load_b128 v[10:13], v[10:11]
	s_wait_loadcnt_dscnt 0x0
	v_mul_f64_e32 v[14:15], v[2:3], v[10:11]
	v_mul_f64_e32 v[16:17], v[2:3], v[12:13]
	v_fma_f64 v[12:13], v[4:5], v[12:13], -v[14:15]
	s_delay_alu instid0(VALU_DEP_2) | instskip(SKIP_2) | instid1(VALU_DEP_1)
	v_fma_f64 v[14:15], v[10:11], -v[4:5], -v[16:17]
	s_wait_xcnt 0x0
	v_lshl_add_u64 v[10:11], v[18:19], 4, s[2:3]
	v_add_nc_u64_e32 v[10:11], v[10:11], v[8:9]
	global_store_b128 v[10:11], v[12:15], off
.LBB77_25:
	s_and_not1_b32 vcc_lo, exec_lo, s6
	s_cbranch_vccnz .LBB77_27
; %bb.26:
	s_ashr_i32 s15, s7, 31
	s_mov_b32 s14, s7
	s_ashr_i32 s13, s10, 31
	s_mov_b32 s12, s10
	s_wait_xcnt 0x0
	v_mul_u64_e32 v[10:11], s[14:15], v[6:7]
	v_mul_u64_e32 v[12:13], s[12:13], v[6:7]
	s_delay_alu instid0(VALU_DEP_2) | instskip(NEXT) | instid1(VALU_DEP_2)
	v_lshl_add_u64 v[10:11], v[10:11], 4, s[0:1]
	v_lshl_add_u64 v[12:13], v[12:13], 4, s[2:3]
	s_delay_alu instid0(VALU_DEP_2) | instskip(NEXT) | instid1(VALU_DEP_2)
	v_add_nc_u64_e32 v[16:17], v[10:11], v[8:9]
	v_add_nc_u64_e32 v[18:19], v[12:13], v[8:9]
	flat_load_b128 v[8:11], v[16:17]
	global_load_b128 v[12:15], v[18:19], off
	s_wait_loadcnt_dscnt 0x0
	v_add_f64_e32 v[12:13], v[8:9], v[12:13]
	v_add_f64_e32 v[8:9], v[10:11], v[14:15]
	s_delay_alu instid0(VALU_DEP_2) | instskip(NEXT) | instid1(VALU_DEP_2)
	v_mul_f64_e32 v[10:11], v[2:3], v[12:13]
	v_mul_f64_e32 v[14:15], v[2:3], v[8:9]
	s_delay_alu instid0(VALU_DEP_2) | instskip(NEXT) | instid1(VALU_DEP_2)
	v_fma_f64 v[8:9], v[4:5], v[8:9], -v[10:11]
	v_fma_f64 v[10:11], v[12:13], -v[4:5], -v[14:15]
	global_store_b128 v[18:19], v[8:11], off
.LBB77_27:
	s_mov_b32 s6, 0
.LBB77_28:
	s_delay_alu instid0(SALU_CYCLE_1)
	s_and_not1_b32 vcc_lo, exec_lo, s6
	s_cbranch_vccnz .LBB77_33
; %bb.29:
	v_mov_b32_e32 v1, 0
	s_and_not1_b32 vcc_lo, exec_lo, s4
	s_mov_b32 s4, -1
	s_cbranch_vccnz .LBB77_31
; %bb.30:
	s_ashr_i32 s13, s7, 31
	s_mov_b32 s12, s7
	s_mov_b32 s4, 0
	s_wait_xcnt 0x0
	v_mul_u64_e32 v[8:9], s[12:13], v[0:1]
	s_ashr_i32 s13, s10, 31
	s_mov_b32 s12, s10
	s_delay_alu instid0(SALU_CYCLE_1) | instskip(NEXT) | instid1(VALU_DEP_2)
	v_mul_u64_e32 v[16:17], s[12:13], v[6:7]
	v_lshl_add_u64 v[8:9], v[8:9], 4, s[0:1]
	s_delay_alu instid0(VALU_DEP_1)
	v_lshl_add_u64 v[8:9], v[6:7], 4, v[8:9]
	flat_load_b128 v[8:11], v[8:9]
	s_wait_loadcnt_dscnt 0x0
	v_mul_f64_e32 v[12:13], v[4:5], v[10:11]
	v_mul_f64_e32 v[14:15], v[4:5], v[8:9]
	s_wait_xcnt 0x0
	s_delay_alu instid0(VALU_DEP_2) | instskip(NEXT) | instid1(VALU_DEP_2)
	v_fma_f64 v[8:9], v[8:9], -v[2:3], -v[12:13]
	v_fma_f64 v[10:11], v[2:3], v[10:11], -v[14:15]
	v_lshl_add_u64 v[12:13], v[16:17], 4, s[2:3]
	s_delay_alu instid0(VALU_DEP_1)
	v_lshl_add_u64 v[12:13], v[0:1], 4, v[12:13]
	global_store_b128 v[12:13], v[8:11], off
.LBB77_31:
	s_and_not1_b32 vcc_lo, exec_lo, s4
	s_cbranch_vccnz .LBB77_33
; %bb.32:
	s_ashr_i32 s15, s7, 31
	s_mov_b32 s14, s7
	s_ashr_i32 s13, s10, 31
	s_mov_b32 s12, s10
	s_wait_xcnt 0x0
	v_mul_u64_e32 v[8:9], s[14:15], v[0:1]
	v_mul_u64_e32 v[10:11], s[12:13], v[6:7]
	s_delay_alu instid0(VALU_DEP_2) | instskip(NEXT) | instid1(VALU_DEP_2)
	v_lshl_add_u64 v[8:9], v[8:9], 4, s[0:1]
	v_lshl_add_u64 v[10:11], v[10:11], 4, s[2:3]
	s_delay_alu instid0(VALU_DEP_2) | instskip(NEXT) | instid1(VALU_DEP_2)
	v_lshl_add_u64 v[14:15], v[6:7], 4, v[8:9]
	v_lshl_add_u64 v[16:17], v[0:1], 4, v[10:11]
	flat_load_b128 v[6:9], v[14:15]
	global_load_b128 v[10:13], v[16:17], off
	s_wait_loadcnt_dscnt 0x0
	v_add_f64_e32 v[6:7], v[6:7], v[10:11]
	v_add_f64_e64 v[0:1], v[12:13], -v[8:9]
	s_delay_alu instid0(VALU_DEP_2) | instskip(NEXT) | instid1(VALU_DEP_2)
	v_mul_f64_e32 v[8:9], v[2:3], v[6:7]
	v_mul_f64_e32 v[2:3], v[2:3], v[0:1]
	s_delay_alu instid0(VALU_DEP_2) | instskip(NEXT) | instid1(VALU_DEP_2)
	v_fma_f64 v[0:1], v[4:5], v[0:1], -v[8:9]
	v_fma_f64 v[2:3], v[6:7], -v[4:5], -v[2:3]
	global_store_b128 v[16:17], v[0:3], off
.LBB77_33:
	s_wait_xcnt 0x0
	s_or_b32 exec_lo, exec_lo, s5
                                        ; implicit-def: $vgpr6
.LBB77_34:
	s_and_not1_saveexec_b32 s0, s8
	s_cbranch_execz .LBB77_36
; %bb.35:
	s_wait_loadcnt 0x0
	global_load_b128 v[0:3], v6, s[16:17] scale_offset
	v_mov_b32_e32 v7, 0
	s_ashr_i32 s1, s10, 31
	s_mov_b32 s0, s10
	s_delay_alu instid0(VALU_DEP_1) | instid1(SALU_CYCLE_1)
	v_mul_u64_e32 v[4:5], s[0:1], v[6:7]
	s_wait_xcnt 0x0
	v_lshlrev_b64_e32 v[6:7], 4, v[6:7]
	s_delay_alu instid0(VALU_DEP_2) | instskip(NEXT) | instid1(VALU_DEP_1)
	v_lshl_add_u64 v[4:5], v[4:5], 4, s[2:3]
	v_add_nc_u64_e32 v[4:5], v[4:5], v[6:7]
	s_wait_loadcnt 0x0
	global_store_b128 v[4:5], v[0:3], off
.LBB77_36:
	s_endpgm
	.section	.rodata,"a",@progbits
	.p2align	6, 0x0
	.amdhsa_kernel _ZN9rocsolver6v33100L14set_triangularI19rocblas_complex_numIdEPKPS3_TnNSt9enable_ifIX18rocblas_is_complexIT_EEiE4typeELi0EEEviiT0_iilPS8_lSC_il15rocblas_direct_15rocblas_storev_b
		.amdhsa_group_segment_fixed_size 0
		.amdhsa_private_segment_fixed_size 0
		.amdhsa_kernarg_size 344
		.amdhsa_user_sgpr_count 2
		.amdhsa_user_sgpr_dispatch_ptr 0
		.amdhsa_user_sgpr_queue_ptr 0
		.amdhsa_user_sgpr_kernarg_segment_ptr 1
		.amdhsa_user_sgpr_dispatch_id 0
		.amdhsa_user_sgpr_kernarg_preload_length 0
		.amdhsa_user_sgpr_kernarg_preload_offset 0
		.amdhsa_user_sgpr_private_segment_size 0
		.amdhsa_wavefront_size32 1
		.amdhsa_uses_dynamic_stack 0
		.amdhsa_enable_private_segment 0
		.amdhsa_system_sgpr_workgroup_id_x 1
		.amdhsa_system_sgpr_workgroup_id_y 1
		.amdhsa_system_sgpr_workgroup_id_z 1
		.amdhsa_system_sgpr_workgroup_info 0
		.amdhsa_system_vgpr_workitem_id 1
		.amdhsa_next_free_vgpr 20
		.amdhsa_next_free_sgpr 22
		.amdhsa_named_barrier_count 0
		.amdhsa_reserve_vcc 1
		.amdhsa_float_round_mode_32 0
		.amdhsa_float_round_mode_16_64 0
		.amdhsa_float_denorm_mode_32 3
		.amdhsa_float_denorm_mode_16_64 3
		.amdhsa_fp16_overflow 0
		.amdhsa_memory_ordered 1
		.amdhsa_forward_progress 1
		.amdhsa_inst_pref_size 17
		.amdhsa_round_robin_scheduling 0
		.amdhsa_exception_fp_ieee_invalid_op 0
		.amdhsa_exception_fp_denorm_src 0
		.amdhsa_exception_fp_ieee_div_zero 0
		.amdhsa_exception_fp_ieee_overflow 0
		.amdhsa_exception_fp_ieee_underflow 0
		.amdhsa_exception_fp_ieee_inexact 0
		.amdhsa_exception_int_div_zero 0
	.end_amdhsa_kernel
	.section	.text._ZN9rocsolver6v33100L14set_triangularI19rocblas_complex_numIdEPKPS3_TnNSt9enable_ifIX18rocblas_is_complexIT_EEiE4typeELi0EEEviiT0_iilPS8_lSC_il15rocblas_direct_15rocblas_storev_b,"axG",@progbits,_ZN9rocsolver6v33100L14set_triangularI19rocblas_complex_numIdEPKPS3_TnNSt9enable_ifIX18rocblas_is_complexIT_EEiE4typeELi0EEEviiT0_iilPS8_lSC_il15rocblas_direct_15rocblas_storev_b,comdat
.Lfunc_end77:
	.size	_ZN9rocsolver6v33100L14set_triangularI19rocblas_complex_numIdEPKPS3_TnNSt9enable_ifIX18rocblas_is_complexIT_EEiE4typeELi0EEEviiT0_iilPS8_lSC_il15rocblas_direct_15rocblas_storev_b, .Lfunc_end77-_ZN9rocsolver6v33100L14set_triangularI19rocblas_complex_numIdEPKPS3_TnNSt9enable_ifIX18rocblas_is_complexIT_EEiE4typeELi0EEEviiT0_iilPS8_lSC_il15rocblas_direct_15rocblas_storev_b
                                        ; -- End function
	.set _ZN9rocsolver6v33100L14set_triangularI19rocblas_complex_numIdEPKPS3_TnNSt9enable_ifIX18rocblas_is_complexIT_EEiE4typeELi0EEEviiT0_iilPS8_lSC_il15rocblas_direct_15rocblas_storev_b.num_vgpr, 20
	.set _ZN9rocsolver6v33100L14set_triangularI19rocblas_complex_numIdEPKPS3_TnNSt9enable_ifIX18rocblas_is_complexIT_EEiE4typeELi0EEEviiT0_iilPS8_lSC_il15rocblas_direct_15rocblas_storev_b.num_agpr, 0
	.set _ZN9rocsolver6v33100L14set_triangularI19rocblas_complex_numIdEPKPS3_TnNSt9enable_ifIX18rocblas_is_complexIT_EEiE4typeELi0EEEviiT0_iilPS8_lSC_il15rocblas_direct_15rocblas_storev_b.numbered_sgpr, 22
	.set _ZN9rocsolver6v33100L14set_triangularI19rocblas_complex_numIdEPKPS3_TnNSt9enable_ifIX18rocblas_is_complexIT_EEiE4typeELi0EEEviiT0_iilPS8_lSC_il15rocblas_direct_15rocblas_storev_b.num_named_barrier, 0
	.set _ZN9rocsolver6v33100L14set_triangularI19rocblas_complex_numIdEPKPS3_TnNSt9enable_ifIX18rocblas_is_complexIT_EEiE4typeELi0EEEviiT0_iilPS8_lSC_il15rocblas_direct_15rocblas_storev_b.private_seg_size, 0
	.set _ZN9rocsolver6v33100L14set_triangularI19rocblas_complex_numIdEPKPS3_TnNSt9enable_ifIX18rocblas_is_complexIT_EEiE4typeELi0EEEviiT0_iilPS8_lSC_il15rocblas_direct_15rocblas_storev_b.uses_vcc, 1
	.set _ZN9rocsolver6v33100L14set_triangularI19rocblas_complex_numIdEPKPS3_TnNSt9enable_ifIX18rocblas_is_complexIT_EEiE4typeELi0EEEviiT0_iilPS8_lSC_il15rocblas_direct_15rocblas_storev_b.uses_flat_scratch, 0
	.set _ZN9rocsolver6v33100L14set_triangularI19rocblas_complex_numIdEPKPS3_TnNSt9enable_ifIX18rocblas_is_complexIT_EEiE4typeELi0EEEviiT0_iilPS8_lSC_il15rocblas_direct_15rocblas_storev_b.has_dyn_sized_stack, 0
	.set _ZN9rocsolver6v33100L14set_triangularI19rocblas_complex_numIdEPKPS3_TnNSt9enable_ifIX18rocblas_is_complexIT_EEiE4typeELi0EEEviiT0_iilPS8_lSC_il15rocblas_direct_15rocblas_storev_b.has_recursion, 0
	.set _ZN9rocsolver6v33100L14set_triangularI19rocblas_complex_numIdEPKPS3_TnNSt9enable_ifIX18rocblas_is_complexIT_EEiE4typeELi0EEEviiT0_iilPS8_lSC_il15rocblas_direct_15rocblas_storev_b.has_indirect_call, 0
	.section	.AMDGPU.csdata,"",@progbits
; Kernel info:
; codeLenInByte = 2084
; TotalNumSgprs: 24
; NumVgprs: 20
; ScratchSize: 0
; MemoryBound: 1
; FloatMode: 240
; IeeeMode: 1
; LDSByteSize: 0 bytes/workgroup (compile time only)
; SGPRBlocks: 0
; VGPRBlocks: 1
; NumSGPRsForWavesPerEU: 24
; NumVGPRsForWavesPerEU: 20
; NamedBarCnt: 0
; Occupancy: 16
; WaveLimiterHint : 1
; COMPUTE_PGM_RSRC2:SCRATCH_EN: 0
; COMPUTE_PGM_RSRC2:USER_SGPR: 2
; COMPUTE_PGM_RSRC2:TRAP_HANDLER: 0
; COMPUTE_PGM_RSRC2:TGID_X_EN: 1
; COMPUTE_PGM_RSRC2:TGID_Y_EN: 1
; COMPUTE_PGM_RSRC2:TGID_Z_EN: 1
; COMPUTE_PGM_RSRC2:TIDIG_COMP_CNT: 1
	.section	.text._ZN9rocsolver6v33100L7set_tauI19rocblas_complex_numIdEEEviPT_l,"axG",@progbits,_ZN9rocsolver6v33100L7set_tauI19rocblas_complex_numIdEEEviPT_l,comdat
	.globl	_ZN9rocsolver6v33100L7set_tauI19rocblas_complex_numIdEEEviPT_l ; -- Begin function _ZN9rocsolver6v33100L7set_tauI19rocblas_complex_numIdEEEviPT_l
	.p2align	8
	.type	_ZN9rocsolver6v33100L7set_tauI19rocblas_complex_numIdEEEviPT_l,@function
_ZN9rocsolver6v33100L7set_tauI19rocblas_complex_numIdEEEviPT_l: ; @_ZN9rocsolver6v33100L7set_tauI19rocblas_complex_numIdEEEviPT_l
; %bb.0:
	s_clause 0x1
	s_load_b32 s3, s[0:1], 0x24
	s_load_b32 s4, s[0:1], 0x0
	s_bfe_u32 s2, ttmp6, 0x4000c
	s_and_b32 s5, ttmp6, 15
	s_add_co_i32 s6, s2, 1
	s_getreg_b32 s2, hwreg(HW_REG_IB_STS2, 6, 4)
	s_mul_i32 s6, ttmp9, s6
	s_delay_alu instid0(SALU_CYCLE_1) | instskip(SKIP_4) | instid1(SALU_CYCLE_1)
	s_add_co_i32 s5, s5, s6
	s_wait_kmcnt 0x0
	s_and_b32 s3, s3, 0xffff
	s_cmp_eq_u32 s2, 0
	s_cselect_b32 s5, ttmp9, s5
	v_mad_u32 v0, s5, s3, v0
	s_mov_b32 s3, 0
	s_delay_alu instid0(VALU_DEP_1)
	v_cmp_gt_u32_e32 vcc_lo, s4, v0
	s_and_saveexec_b32 s4, vcc_lo
	s_cbranch_execz .LBB78_2
; %bb.1:
	s_load_b128 s[4:7], s[0:1], 0x8
	s_wait_xcnt 0x0
	s_bfe_u32 s0, ttmp6, 0x40010
	s_bfe_u32 s1, ttmp6, 0x40004
	s_add_co_i32 s0, s0, 1
	s_delay_alu instid0(SALU_CYCLE_1) | instskip(NEXT) | instid1(SALU_CYCLE_1)
	s_mul_i32 s0, ttmp7, s0
	s_add_co_i32 s1, s1, s0
	s_cmp_eq_u32 s2, 0
	s_cselect_b32 s2, ttmp7, s1
	s_wait_kmcnt 0x0
	s_mul_u64 s[0:1], s[6:7], s[2:3]
	s_delay_alu instid0(SALU_CYCLE_1) | instskip(NEXT) | instid1(SALU_CYCLE_1)
	s_lshl_b64 s[0:1], s[0:1], 4
	s_add_nc_u64 s[0:1], s[4:5], s[0:1]
	global_load_b128 v[2:5], v0, s[0:1] scale_offset
	s_wait_loadcnt 0x0
	v_xor_b32_e32 v3, 0x80000000, v3
	v_xor_b32_e32 v5, 0x80000000, v5
	global_store_b128 v0, v[2:5], s[0:1] scale_offset
.LBB78_2:
	s_endpgm
	.section	.rodata,"a",@progbits
	.p2align	6, 0x0
	.amdhsa_kernel _ZN9rocsolver6v33100L7set_tauI19rocblas_complex_numIdEEEviPT_l
		.amdhsa_group_segment_fixed_size 0
		.amdhsa_private_segment_fixed_size 0
		.amdhsa_kernarg_size 280
		.amdhsa_user_sgpr_count 2
		.amdhsa_user_sgpr_dispatch_ptr 0
		.amdhsa_user_sgpr_queue_ptr 0
		.amdhsa_user_sgpr_kernarg_segment_ptr 1
		.amdhsa_user_sgpr_dispatch_id 0
		.amdhsa_user_sgpr_kernarg_preload_length 0
		.amdhsa_user_sgpr_kernarg_preload_offset 0
		.amdhsa_user_sgpr_private_segment_size 0
		.amdhsa_wavefront_size32 1
		.amdhsa_uses_dynamic_stack 0
		.amdhsa_enable_private_segment 0
		.amdhsa_system_sgpr_workgroup_id_x 1
		.amdhsa_system_sgpr_workgroup_id_y 1
		.amdhsa_system_sgpr_workgroup_id_z 0
		.amdhsa_system_sgpr_workgroup_info 0
		.amdhsa_system_vgpr_workitem_id 0
		.amdhsa_next_free_vgpr 6
		.amdhsa_next_free_sgpr 8
		.amdhsa_named_barrier_count 0
		.amdhsa_reserve_vcc 1
		.amdhsa_float_round_mode_32 0
		.amdhsa_float_round_mode_16_64 0
		.amdhsa_float_denorm_mode_32 3
		.amdhsa_float_denorm_mode_16_64 3
		.amdhsa_fp16_overflow 0
		.amdhsa_memory_ordered 1
		.amdhsa_forward_progress 1
		.amdhsa_inst_pref_size 2
		.amdhsa_round_robin_scheduling 0
		.amdhsa_exception_fp_ieee_invalid_op 0
		.amdhsa_exception_fp_denorm_src 0
		.amdhsa_exception_fp_ieee_div_zero 0
		.amdhsa_exception_fp_ieee_overflow 0
		.amdhsa_exception_fp_ieee_underflow 0
		.amdhsa_exception_fp_ieee_inexact 0
		.amdhsa_exception_int_div_zero 0
	.end_amdhsa_kernel
	.section	.text._ZN9rocsolver6v33100L7set_tauI19rocblas_complex_numIdEEEviPT_l,"axG",@progbits,_ZN9rocsolver6v33100L7set_tauI19rocblas_complex_numIdEEEviPT_l,comdat
.Lfunc_end78:
	.size	_ZN9rocsolver6v33100L7set_tauI19rocblas_complex_numIdEEEviPT_l, .Lfunc_end78-_ZN9rocsolver6v33100L7set_tauI19rocblas_complex_numIdEEEviPT_l
                                        ; -- End function
	.set _ZN9rocsolver6v33100L7set_tauI19rocblas_complex_numIdEEEviPT_l.num_vgpr, 6
	.set _ZN9rocsolver6v33100L7set_tauI19rocblas_complex_numIdEEEviPT_l.num_agpr, 0
	.set _ZN9rocsolver6v33100L7set_tauI19rocblas_complex_numIdEEEviPT_l.numbered_sgpr, 8
	.set _ZN9rocsolver6v33100L7set_tauI19rocblas_complex_numIdEEEviPT_l.num_named_barrier, 0
	.set _ZN9rocsolver6v33100L7set_tauI19rocblas_complex_numIdEEEviPT_l.private_seg_size, 0
	.set _ZN9rocsolver6v33100L7set_tauI19rocblas_complex_numIdEEEviPT_l.uses_vcc, 1
	.set _ZN9rocsolver6v33100L7set_tauI19rocblas_complex_numIdEEEviPT_l.uses_flat_scratch, 0
	.set _ZN9rocsolver6v33100L7set_tauI19rocblas_complex_numIdEEEviPT_l.has_dyn_sized_stack, 0
	.set _ZN9rocsolver6v33100L7set_tauI19rocblas_complex_numIdEEEviPT_l.has_recursion, 0
	.set _ZN9rocsolver6v33100L7set_tauI19rocblas_complex_numIdEEEviPT_l.has_indirect_call, 0
	.section	.AMDGPU.csdata,"",@progbits
; Kernel info:
; codeLenInByte = 220
; TotalNumSgprs: 10
; NumVgprs: 6
; ScratchSize: 0
; MemoryBound: 0
; FloatMode: 240
; IeeeMode: 1
; LDSByteSize: 0 bytes/workgroup (compile time only)
; SGPRBlocks: 0
; VGPRBlocks: 0
; NumSGPRsForWavesPerEU: 10
; NumVGPRsForWavesPerEU: 6
; NamedBarCnt: 0
; Occupancy: 16
; WaveLimiterHint : 0
; COMPUTE_PGM_RSRC2:SCRATCH_EN: 0
; COMPUTE_PGM_RSRC2:USER_SGPR: 2
; COMPUTE_PGM_RSRC2:TRAP_HANDLER: 0
; COMPUTE_PGM_RSRC2:TGID_X_EN: 1
; COMPUTE_PGM_RSRC2:TGID_Y_EN: 1
; COMPUTE_PGM_RSRC2:TGID_Z_EN: 0
; COMPUTE_PGM_RSRC2:TIDIG_COMP_CNT: 0
	.section	.text._ZN9rocsolver6v33100L20larft_kernel_forwardI19rocblas_complex_numIdEPKPS3_EEv15rocblas_storev_iiT0_iilPT_lSA_il,"axG",@progbits,_ZN9rocsolver6v33100L20larft_kernel_forwardI19rocblas_complex_numIdEPKPS3_EEv15rocblas_storev_iiT0_iilPT_lSA_il,comdat
	.globl	_ZN9rocsolver6v33100L20larft_kernel_forwardI19rocblas_complex_numIdEPKPS3_EEv15rocblas_storev_iiT0_iilPT_lSA_il ; -- Begin function _ZN9rocsolver6v33100L20larft_kernel_forwardI19rocblas_complex_numIdEPKPS3_EEv15rocblas_storev_iiT0_iilPT_lSA_il
	.p2align	8
	.type	_ZN9rocsolver6v33100L20larft_kernel_forwardI19rocblas_complex_numIdEPKPS3_EEv15rocblas_storev_iiT0_iilPT_lSA_il,@function
_ZN9rocsolver6v33100L20larft_kernel_forwardI19rocblas_complex_numIdEPKPS3_EEv15rocblas_storev_iiT0_iilPT_lSA_il: ; @_ZN9rocsolver6v33100L20larft_kernel_forwardI19rocblas_complex_numIdEPKPS3_EEv15rocblas_storev_iiT0_iilPT_lSA_il
; %bb.0:
	s_clause 0x1
	s_load_b32 s2, s[0:1], 0x5c
	s_load_b64 s[4:5], s[0:1], 0x10
	s_bfe_u32 s3, ttmp6, 0x40010
	s_bfe_u32 s6, ttmp6, 0x40004
	s_add_co_i32 s3, s3, 1
	s_getreg_b32 s7, hwreg(HW_REG_IB_STS2, 6, 4)
	s_mul_i32 s11, ttmp7, s3
	s_clause 0x1
	s_load_b96 s[8:10], s[0:1], 0x38
	s_load_b96 s[12:14], s[0:1], 0x0
	s_add_co_i32 s6, s6, s11
	s_load_b64 s[20:21], s[0:1], 0x48
	v_lshlrev_b32_e32 v2, 4, v0
	s_mov_b32 s11, 0
	s_wait_kmcnt 0x0
	s_and_b32 s3, s2, 0xffff
	s_cmp_eq_u32 s7, 0
	s_cselect_b32 s18, ttmp7, s6
	s_delay_alu instid0(SALU_CYCLE_1)
	s_ashr_i32 s19, s18, 31
	v_mad_u32 v1, v0, s10, v0
	s_lshl_b64 s[6:7], s[18:19], 3
	v_cmp_gt_i32_e64 s2, s14, v0
	s_add_nc_u64 s[22:23], s[4:5], s[6:7]
	s_load_b128 s[4:7], s[0:1], 0x28
	s_load_b64 s[16:17], s[22:23], 0x0
	s_mul_u64 s[20:21], s[20:21], s[18:19]
	s_delay_alu instid0(SALU_CYCLE_1) | instskip(NEXT) | instid1(SALU_CYCLE_1)
	s_lshl_b64 s[20:21], s[20:21], 4
	s_add_nc_u64 s[8:9], s[8:9], s[20:21]
	s_and_saveexec_b32 s15, s2
	s_cbranch_execz .LBB79_5
; %bb.1:
	v_dual_add_nc_u32 v3, 16, v2 :: v_dual_mov_b32 v5, v0
	s_lshl_b32 s20, s14, 4
	s_wait_xcnt 0x0
	s_add_co_i32 s22, s10, 1
	s_add_co_i32 s21, s20, 16
	v_mul_lo_u32 v4, s14, v3
	v_mad_u32 v3, v0, s10, v0
	s_mul_i32 s21, s21, s3
	s_mul_i32 s22, s22, s3
	s_delay_alu instid0(VALU_DEP_2)
	v_add3_u32 v4, v4, v2, 0
.LBB79_2:                               ; =>This Loop Header: Depth=1
                                        ;     Child Loop BB79_3 Depth 2
	s_delay_alu instid0(VALU_DEP_1)
	v_dual_mov_b32 v6, v3 :: v_dual_mov_b32 v7, v4
	v_mov_b32_e32 v8, v5
	s_mov_b32 s23, 0
.LBB79_3:                               ;   Parent Loop BB79_2 Depth=1
                                        ; =>  This Inner Loop Header: Depth=2
	global_load_b128 v[10:13], v6, s[8:9] scale_offset
	s_wait_xcnt 0x0
	v_dual_add_nc_u32 v8, 1, v8 :: v_dual_add_nc_u32 v6, s10, v6
	s_delay_alu instid0(VALU_DEP_1)
	v_cmp_le_i32_e32 vcc_lo, s14, v8
	s_or_b32 s23, vcc_lo, s23
	s_wait_loadcnt 0x0
	ds_store_2addr_b64 v7, v[10:11], v[12:13] offset1:1
	v_add_nc_u32_e32 v7, s20, v7
	s_and_not1_b32 exec_lo, exec_lo, s23
	s_cbranch_execnz .LBB79_3
; %bb.4:                                ;   in Loop: Header=BB79_2 Depth=1
	s_or_b32 exec_lo, exec_lo, s23
	v_dual_add_nc_u32 v5, s3, v5 :: v_dual_add_nc_u32 v4, s21, v4
	v_add_nc_u32_e32 v3, s22, v3
	s_delay_alu instid0(VALU_DEP_2) | instskip(SKIP_1) | instid1(SALU_CYCLE_1)
	v_cmp_le_i32_e32 vcc_lo, s14, v5
	s_or_b32 s11, vcc_lo, s11
	s_and_not1_b32 exec_lo, exec_lo, s11
	s_cbranch_execnz .LBB79_2
.LBB79_5:
	s_or_b32 exec_lo, exec_lo, s15
	s_cmp_lt_i32 s14, 2
	s_wait_dscnt 0x0
	s_barrier_signal -1
	s_barrier_wait -1
	s_cbranch_scc1 .LBB79_30
; %bb.6:
	s_wait_xcnt 0x0
	s_load_b64 s[0:1], s[0:1], 0x18
	v_dual_mov_b32 v3, 0 :: v_dual_add_nc_u32 v4, 16, v2
	s_wait_kmcnt 0x0
	s_mul_u64 s[6:7], s[6:7], s[18:19]
	s_lshl_b32 s11, s14, 4
	s_lshl_b64 s[6:7], s[6:7], 4
	v_mul_lo_u32 v6, s14, v4
	s_add_co_i32 s33, s11, 0
	s_add_nc_u64 s[20:21], s[4:5], s[6:7]
	v_add_nc_u32_e32 v16, 0, v2
	s_mov_b32 s19, 0
	s_mov_b32 s15, 1
	s_delay_alu instid0(VALU_DEP_2)
	v_add3_u32 v15, v6, v2, 0
	s_ashr_i32 s5, s0, 31
	s_mov_b32 s4, s0
	v_mul_lo_u32 v14, v0, s1
	s_cmp_lg_u32 s12, 0xb5
	s_mov_b32 s6, s1
	s_cselect_b32 s38, -1, 0
	s_lshl_b64 s[22:23], s[4:5], 4
	s_ashr_i32 s7, s1, 31
	v_add_nc_u64_e32 v[4:5], s[22:23], v[2:3]
	s_add_nc_u64 s[4:5], s[16:17], s[22:23]
	s_add_co_i32 s40, s11, 16
	s_mul_i32 s12, s1, s3
	s_add_co_i32 s39, s13, -2
	s_lshl_b32 s24, s1, 1
	s_lshl_b32 s18, s3, 4
	s_lshl_b64 s[26:27], s[6:7], 4
	s_add_nc_u64 s[28:29], s[4:5], 40
	s_mul_i32 s40, s40, s3
	s_mov_b32 s30, s1
	s_branch .LBB79_8
.LBB79_7:                               ;   in Loop: Header=BB79_8 Depth=1
	s_or_b32 exec_lo, exec_lo, s0
	s_wait_xcnt 0x0
	s_add_co_i32 s15, s15, 1
	s_add_co_i32 s39, s39, -1
	s_add_co_i32 s24, s24, s1
	s_add_co_i32 s30, s30, s1
	s_add_nc_u64 s[22:23], s[22:23], 16
	s_cmp_eq_u32 s15, s14
	s_add_nc_u64 s[28:29], s[28:29], 16
	s_wait_dscnt 0x0
	s_barrier_signal -1
	s_barrier_wait -1
	s_cbranch_scc1 .LBB79_30
.LBB79_8:                               ; =>This Loop Header: Depth=1
                                        ;     Child Loop BB79_12 Depth 2
                                        ;       Child Loop BB79_14 Depth 3
                                        ;     Child Loop BB79_21 Depth 2
                                        ;       Child Loop BB79_23 Depth 3
	;; [unrolled: 2-line block ×3, first 2 shown]
	s_mul_i32 s0, s15, s14
	s_not_b32 s4, s15
	s_lshl_b32 s0, s0, 4
	s_add_co_i32 s42, s13, s4
	s_add_co_i32 s41, s33, s0
	v_cmp_gt_u32_e64 s0, s15, v0
	s_and_b32 vcc_lo, exec_lo, s38
	s_mov_b32 s4, -1
	s_cbranch_vccz .LBB79_16
; %bb.9:                                ;   in Loop: Header=BB79_8 Depth=1
	s_and_saveexec_b32 s31, s0
	s_cbranch_execz .LBB79_15
; %bb.10:                               ;   in Loop: Header=BB79_8 Depth=1
	s_load_b128 s[4:7], s[20:21], s15 offset:0x0 scale_offset
	s_ashr_i32 s25, s24, 31
	v_mov_b64_e32 v[6:7], v[4:5]
	s_lshl_b64 s[34:35], s[24:25], 4
	v_mov_b32_e32 v12, v0
	s_cmp_gt_i32 s42, 0
	s_add_nc_u64 s[34:35], s[16:17], s[34:35]
	s_cselect_b32 s0, -1, 0
	s_mov_b32 s25, 0
	s_branch .LBB79_12
.LBB79_11:                              ;   in Loop: Header=BB79_12 Depth=2
	s_wait_kmcnt 0x0
	s_delay_alu instid0(VALU_DEP_1) | instskip(NEXT) | instid1(VALU_DEP_2)
	v_mul_f64_e32 v[18:19], s[6:7], v[8:9]
	v_dual_mul_f64 v[20:21], s[6:7], v[10:11] :: v_dual_lshlrev_b32 v13, 4, v12
	v_add_nc_u64_e32 v[6:7], s[18:19], v[6:7]
	v_add_nc_u32_e32 v12, s3, v12
	s_delay_alu instid0(VALU_DEP_1)
	v_cmp_le_u32_e32 vcc_lo, s15, v12
	s_or_b32 s25, vcc_lo, s25
	v_fma_f64 v[18:19], v[10:11], s[4:5], -v[18:19]
	v_fmac_f64_e32 v[20:21], s[4:5], v[8:9]
	v_dual_add_nc_u32 v8, s41, v13 :: v_dual_add_nc_u32 v13, 0, v13
	ds_load_2addr_b64 v[8:11], v8 offset1:1
	s_wait_dscnt 0x0
	v_add_f64_e32 v[8:9], v[8:9], v[18:19]
	v_add_f64_e32 v[10:11], v[10:11], v[20:21]
	ds_store_2addr_b64 v13, v[8:9], v[10:11] offset1:1
	s_and_not1_b32 exec_lo, exec_lo, s25
	s_cbranch_execz .LBB79_15
.LBB79_12:                              ;   Parent Loop BB79_8 Depth=1
                                        ; =>  This Loop Header: Depth=2
                                        ;       Child Loop BB79_14 Depth 3
	v_mov_b64_e32 v[8:9], 0
	v_mov_b64_e32 v[10:11], 0
	s_and_not1_b32 vcc_lo, exec_lo, s0
	s_cbranch_vccnz .LBB79_11
; %bb.13:                               ;   in Loop: Header=BB79_12 Depth=2
	s_mov_b32 s43, 0
	s_mov_b64 s[36:37], s[34:35]
.LBB79_14:                              ;   Parent Loop BB79_8 Depth=1
                                        ;     Parent Loop BB79_12 Depth=2
                                        ; =>    This Inner Loop Header: Depth=3
	s_delay_alu instid0(SALU_CYCLE_1)
	v_add_nc_u64_e32 v[26:27], s[36:37], v[6:7]
	s_add_nc_u64 s[44:45], s[36:37], s[22:23]
	s_add_co_i32 s43, s43, 1
	s_add_nc_u64 s[36:37], s[36:37], s[26:27]
	s_cmp_eq_u32 s39, s43
	s_clause 0x1
	flat_load_b128 v[18:21], v3, s[44:45] offset:16
	flat_load_b128 v[22:25], v[26:27]
	s_wait_loadcnt_dscnt 0x0
	s_wait_xcnt 0x0
	v_mul_f64_e32 v[26:27], v[20:21], v[24:25]
	v_mul_f64_e32 v[20:21], v[20:21], v[22:23]
	s_delay_alu instid0(VALU_DEP_2) | instskip(NEXT) | instid1(VALU_DEP_2)
	v_fmac_f64_e32 v[26:27], v[18:19], v[22:23]
	v_fma_f64 v[18:19], v[18:19], v[24:25], -v[20:21]
	s_delay_alu instid0(VALU_DEP_2) | instskip(NEXT) | instid1(VALU_DEP_2)
	v_add_f64_e32 v[10:11], v[10:11], v[26:27]
	v_add_f64_e32 v[8:9], v[8:9], v[18:19]
	s_cbranch_scc0 .LBB79_14
	s_branch .LBB79_11
.LBB79_15:                              ;   in Loop: Header=BB79_8 Depth=1
	s_or_b32 exec_lo, exec_lo, s31
	s_mov_b32 s4, 0
.LBB79_16:                              ;   in Loop: Header=BB79_8 Depth=1
	s_delay_alu instid0(SALU_CYCLE_1)
	s_and_not1_b32 vcc_lo, exec_lo, s4
	s_cbranch_vccnz .LBB79_25
; %bb.17:                               ;   in Loop: Header=BB79_8 Depth=1
	s_mov_b32 s0, exec_lo
	v_cmpx_gt_u32_e64 s15, v0
	s_cbranch_execz .LBB79_24
; %bb.18:                               ;   in Loop: Header=BB79_8 Depth=1
	s_load_b128 s[4:7], s[20:21], s15 offset:0x0 scale_offset
	s_ashr_i32 s31, s30, 31
	v_dual_mov_b32 v6, v14 :: v_dual_mov_b32 v17, v0
	s_lshl_b64 s[34:35], s[30:31], 4
	s_cmp_gt_i32 s42, 0
	s_mov_b32 s31, 0
	s_cselect_b32 s25, -1, 0
	s_branch .LBB79_21
.LBB79_19:                              ;   in Loop: Header=BB79_21 Depth=2
	v_mov_b64_e32 v[8:9], 0
	v_mov_b64_e32 v[10:11], 0
.LBB79_20:                              ;   in Loop: Header=BB79_21 Depth=2
	s_wait_kmcnt 0x0
	s_delay_alu instid0(VALU_DEP_1) | instskip(NEXT) | instid1(VALU_DEP_2)
	v_dual_mul_f64 v[18:19], s[6:7], v[10:11] :: v_dual_lshlrev_b32 v7, 4, v17
	v_dual_mul_f64 v[12:13], s[6:7], v[8:9] :: v_dual_add_nc_u32 v6, s12, v6
	v_add_nc_u32_e32 v17, s3, v17
	s_delay_alu instid0(VALU_DEP_1) | instskip(SKIP_1) | instid1(VALU_DEP_4)
	v_cmp_le_u32_e32 vcc_lo, s15, v17
	s_or_b32 s31, vcc_lo, s31
	v_fmac_f64_e32 v[18:19], s[4:5], v[8:9]
	v_add_nc_u32_e32 v8, s41, v7
	v_fma_f64 v[12:13], v[10:11], s[4:5], -v[12:13]
	v_add_nc_u32_e32 v7, 0, v7
	ds_load_2addr_b64 v[8:11], v8 offset1:1
	s_wait_dscnt 0x0
	v_add_f64_e32 v[10:11], v[10:11], v[18:19]
	v_add_f64_e32 v[8:9], v[8:9], v[12:13]
	ds_store_2addr_b64 v7, v[8:9], v[10:11] offset1:1
	s_and_not1_b32 exec_lo, exec_lo, s31
	s_cbranch_execz .LBB79_24
.LBB79_21:                              ;   Parent Loop BB79_8 Depth=1
                                        ; =>  This Loop Header: Depth=2
                                        ;       Child Loop BB79_23 Depth 3
	s_and_not1_b32 vcc_lo, exec_lo, s25
	s_cbranch_vccnz .LBB79_19
; %bb.22:                               ;   in Loop: Header=BB79_21 Depth=2
	v_ashrrev_i32_e32 v7, 31, v6
	v_mov_b64_e32 v[8:9], 0
	v_mov_b64_e32 v[10:11], 0
	s_mov_b32 s42, 0
	s_mov_b64 s[36:37], s[28:29]
	v_lshlrev_b64_e32 v[12:13], 4, v[6:7]
.LBB79_23:                              ;   Parent Loop BB79_8 Depth=1
                                        ;     Parent Loop BB79_21 Depth=2
                                        ; =>    This Inner Loop Header: Depth=3
	s_delay_alu instid0(VALU_DEP_1)
	v_add_nc_u64_e32 v[26:27], s[36:37], v[12:13]
	s_add_nc_u64 s[44:45], s[36:37], s[34:35]
	s_add_co_i32 s42, s42, 1
	s_add_nc_u64 s[36:37], s[36:37], 16
	s_cmp_eq_u32 s39, s42
	s_clause 0x1
	flat_load_b128 v[18:21], v[26:27] offset:-8
	flat_load_b128 v[22:25], v3, s[44:45] offset:-8
	s_wait_loadcnt_dscnt 0x0
	v_mul_f64_e32 v[26:27], v[20:21], v[24:25]
	v_mul_f64_e32 v[20:21], v[20:21], v[22:23]
	s_delay_alu instid0(VALU_DEP_2) | instskip(NEXT) | instid1(VALU_DEP_2)
	v_fmac_f64_e32 v[26:27], v[18:19], v[22:23]
	v_fma_f64 v[18:19], v[18:19], v[24:25], -v[20:21]
	s_delay_alu instid0(VALU_DEP_2) | instskip(NEXT) | instid1(VALU_DEP_2)
	v_add_f64_e32 v[10:11], v[10:11], v[26:27]
	v_add_f64_e32 v[8:9], v[8:9], v[18:19]
	s_cbranch_scc0 .LBB79_23
	s_branch .LBB79_20
.LBB79_24:                              ;   in Loop: Header=BB79_8 Depth=1
	s_or_b32 exec_lo, exec_lo, s0
.LBB79_25:                              ;   in Loop: Header=BB79_8 Depth=1
	s_delay_alu instid0(SALU_CYCLE_1)
	s_mov_b32 s0, exec_lo
	s_wait_dscnt 0x0
	s_barrier_signal -1
	s_barrier_wait -1
	v_cmpx_gt_u32_e64 s15, v0
	s_cbranch_execz .LBB79_7
; %bb.26:                               ;   in Loop: Header=BB79_8 Depth=1
	v_dual_mov_b32 v10, v16 :: v_dual_mov_b32 v11, v15
	v_mov_b32_e32 v12, v0
	s_mov_b32 s4, 0
.LBB79_27:                              ;   Parent Loop BB79_8 Depth=1
                                        ; =>  This Loop Header: Depth=2
                                        ;       Child Loop BB79_28 Depth 3
	v_mov_b64_e32 v[6:7], 0
	v_mov_b64_e32 v[8:9], 0
	v_dual_mov_b32 v13, v10 :: v_dual_mov_b32 v17, v11
	v_mov_b32_e32 v18, v12
	s_mov_b32 s5, 0
.LBB79_28:                              ;   Parent Loop BB79_8 Depth=1
                                        ;     Parent Loop BB79_27 Depth=2
                                        ; =>    This Inner Loop Header: Depth=3
	ds_load_2addr_b64 v[20:23], v13 offset1:1
	ds_load_2addr_b64 v[24:27], v17 offset1:1
	v_add_nc_u32_e32 v17, s11, v17
	v_dual_add_nc_u32 v13, 16, v13 :: v_dual_add_nc_u32 v18, 1, v18
	s_delay_alu instid0(VALU_DEP_1) | instskip(SKIP_4) | instid1(VALU_DEP_2)
	v_cmp_le_u32_e32 vcc_lo, s15, v18
	s_or_b32 s5, vcc_lo, s5
	s_wait_dscnt 0x0
	v_mul_f64_e32 v[28:29], v[22:23], v[26:27]
	v_mul_f64_e32 v[26:27], v[20:21], v[26:27]
	v_fma_f64 v[20:21], v[20:21], v[24:25], -v[28:29]
	s_delay_alu instid0(VALU_DEP_2) | instskip(NEXT) | instid1(VALU_DEP_2)
	v_fmac_f64_e32 v[26:27], v[22:23], v[24:25]
	v_add_f64_e32 v[6:7], v[6:7], v[20:21]
	s_delay_alu instid0(VALU_DEP_2)
	v_add_f64_e32 v[8:9], v[8:9], v[26:27]
	s_and_not1_b32 exec_lo, exec_lo, s5
	s_cbranch_execnz .LBB79_28
; %bb.29:                               ;   in Loop: Header=BB79_27 Depth=2
	s_or_b32 exec_lo, exec_lo, s5
	v_lshl_add_u32 v13, v12, 4, s41
	v_dual_add_nc_u32 v12, s3, v12 :: v_dual_add_nc_u32 v11, s40, v11
	v_add_nc_u32_e32 v10, s18, v10
	ds_store_2addr_b64 v13, v[6:7], v[8:9] offset1:1
	v_cmp_le_u32_e32 vcc_lo, s15, v12
	s_or_b32 s4, vcc_lo, s4
	s_delay_alu instid0(SALU_CYCLE_1)
	s_and_not1_b32 exec_lo, exec_lo, s4
	s_cbranch_execnz .LBB79_27
	s_branch .LBB79_7
.LBB79_30:
	s_wait_xcnt 0x0
	s_and_saveexec_b32 s0, s2
	s_cbranch_execz .LBB79_35
; %bb.31:
	v_add_nc_u32_e32 v3, 16, v2
	s_lshl_b32 s1, s14, 4
	s_add_co_i32 s0, s10, 1
	s_wait_kmcnt 0x0
	s_add_co_i32 s4, s1, 16
	s_mul_i32 s0, s0, s3
	v_mul_lo_u32 v3, s14, v3
	s_mov_b32 s2, 0
	s_mul_i32 s4, s4, s3
	s_delay_alu instid0(VALU_DEP_1)
	v_add3_u32 v2, v3, v2, 0
.LBB79_32:                              ; =>This Loop Header: Depth=1
                                        ;     Child Loop BB79_33 Depth 2
	s_delay_alu instid0(VALU_DEP_1)
	v_dual_mov_b32 v3, v2 :: v_dual_mov_b32 v4, v1
	v_mov_b32_e32 v5, v0
	s_mov_b32 s5, 0
.LBB79_33:                              ;   Parent Loop BB79_32 Depth=1
                                        ; =>  This Inner Loop Header: Depth=2
	ds_load_2addr_b64 v[6:9], v3 offset1:1
	v_dual_add_nc_u32 v5, 1, v5 :: v_dual_add_nc_u32 v3, s1, v3
	s_delay_alu instid0(VALU_DEP_1)
	v_cmp_le_i32_e32 vcc_lo, s14, v5
	s_or_b32 s5, vcc_lo, s5
	s_wait_dscnt 0x0
	global_store_b128 v4, v[6:9], s[8:9] scale_offset
	s_wait_xcnt 0x0
	v_add_nc_u32_e32 v4, s10, v4
	s_and_not1_b32 exec_lo, exec_lo, s5
	s_cbranch_execnz .LBB79_33
; %bb.34:                               ;   in Loop: Header=BB79_32 Depth=1
	s_or_b32 exec_lo, exec_lo, s5
	v_dual_add_nc_u32 v0, s3, v0 :: v_dual_add_nc_u32 v1, s0, v1
	v_add_nc_u32_e32 v2, s4, v2
	s_delay_alu instid0(VALU_DEP_2) | instskip(SKIP_1) | instid1(SALU_CYCLE_1)
	v_cmp_le_i32_e32 vcc_lo, s14, v0
	s_or_b32 s2, vcc_lo, s2
	s_and_not1_b32 exec_lo, exec_lo, s2
	s_cbranch_execnz .LBB79_32
.LBB79_35:
	s_endpgm
	.section	.rodata,"a",@progbits
	.p2align	6, 0x0
	.amdhsa_kernel _ZN9rocsolver6v33100L20larft_kernel_forwardI19rocblas_complex_numIdEPKPS3_EEv15rocblas_storev_iiT0_iilPT_lSA_il
		.amdhsa_group_segment_fixed_size 0
		.amdhsa_private_segment_fixed_size 0
		.amdhsa_kernarg_size 336
		.amdhsa_user_sgpr_count 2
		.amdhsa_user_sgpr_dispatch_ptr 0
		.amdhsa_user_sgpr_queue_ptr 0
		.amdhsa_user_sgpr_kernarg_segment_ptr 1
		.amdhsa_user_sgpr_dispatch_id 0
		.amdhsa_user_sgpr_kernarg_preload_length 0
		.amdhsa_user_sgpr_kernarg_preload_offset 0
		.amdhsa_user_sgpr_private_segment_size 0
		.amdhsa_wavefront_size32 1
		.amdhsa_uses_dynamic_stack 0
		.amdhsa_enable_private_segment 0
		.amdhsa_system_sgpr_workgroup_id_x 1
		.amdhsa_system_sgpr_workgroup_id_y 1
		.amdhsa_system_sgpr_workgroup_id_z 0
		.amdhsa_system_sgpr_workgroup_info 0
		.amdhsa_system_vgpr_workitem_id 0
		.amdhsa_next_free_vgpr 30
		.amdhsa_next_free_sgpr 46
		.amdhsa_named_barrier_count 0
		.amdhsa_reserve_vcc 1
		.amdhsa_float_round_mode_32 0
		.amdhsa_float_round_mode_16_64 0
		.amdhsa_float_denorm_mode_32 3
		.amdhsa_float_denorm_mode_16_64 3
		.amdhsa_fp16_overflow 0
		.amdhsa_memory_ordered 1
		.amdhsa_forward_progress 1
		.amdhsa_inst_pref_size 14
		.amdhsa_round_robin_scheduling 0
		.amdhsa_exception_fp_ieee_invalid_op 0
		.amdhsa_exception_fp_denorm_src 0
		.amdhsa_exception_fp_ieee_div_zero 0
		.amdhsa_exception_fp_ieee_overflow 0
		.amdhsa_exception_fp_ieee_underflow 0
		.amdhsa_exception_fp_ieee_inexact 0
		.amdhsa_exception_int_div_zero 0
	.end_amdhsa_kernel
	.section	.text._ZN9rocsolver6v33100L20larft_kernel_forwardI19rocblas_complex_numIdEPKPS3_EEv15rocblas_storev_iiT0_iilPT_lSA_il,"axG",@progbits,_ZN9rocsolver6v33100L20larft_kernel_forwardI19rocblas_complex_numIdEPKPS3_EEv15rocblas_storev_iiT0_iilPT_lSA_il,comdat
.Lfunc_end79:
	.size	_ZN9rocsolver6v33100L20larft_kernel_forwardI19rocblas_complex_numIdEPKPS3_EEv15rocblas_storev_iiT0_iilPT_lSA_il, .Lfunc_end79-_ZN9rocsolver6v33100L20larft_kernel_forwardI19rocblas_complex_numIdEPKPS3_EEv15rocblas_storev_iiT0_iilPT_lSA_il
                                        ; -- End function
	.set _ZN9rocsolver6v33100L20larft_kernel_forwardI19rocblas_complex_numIdEPKPS3_EEv15rocblas_storev_iiT0_iilPT_lSA_il.num_vgpr, 30
	.set _ZN9rocsolver6v33100L20larft_kernel_forwardI19rocblas_complex_numIdEPKPS3_EEv15rocblas_storev_iiT0_iilPT_lSA_il.num_agpr, 0
	.set _ZN9rocsolver6v33100L20larft_kernel_forwardI19rocblas_complex_numIdEPKPS3_EEv15rocblas_storev_iiT0_iilPT_lSA_il.numbered_sgpr, 46
	.set _ZN9rocsolver6v33100L20larft_kernel_forwardI19rocblas_complex_numIdEPKPS3_EEv15rocblas_storev_iiT0_iilPT_lSA_il.num_named_barrier, 0
	.set _ZN9rocsolver6v33100L20larft_kernel_forwardI19rocblas_complex_numIdEPKPS3_EEv15rocblas_storev_iiT0_iilPT_lSA_il.private_seg_size, 0
	.set _ZN9rocsolver6v33100L20larft_kernel_forwardI19rocblas_complex_numIdEPKPS3_EEv15rocblas_storev_iiT0_iilPT_lSA_il.uses_vcc, 1
	.set _ZN9rocsolver6v33100L20larft_kernel_forwardI19rocblas_complex_numIdEPKPS3_EEv15rocblas_storev_iiT0_iilPT_lSA_il.uses_flat_scratch, 1
	.set _ZN9rocsolver6v33100L20larft_kernel_forwardI19rocblas_complex_numIdEPKPS3_EEv15rocblas_storev_iiT0_iilPT_lSA_il.has_dyn_sized_stack, 0
	.set _ZN9rocsolver6v33100L20larft_kernel_forwardI19rocblas_complex_numIdEPKPS3_EEv15rocblas_storev_iiT0_iilPT_lSA_il.has_recursion, 0
	.set _ZN9rocsolver6v33100L20larft_kernel_forwardI19rocblas_complex_numIdEPKPS3_EEv15rocblas_storev_iiT0_iilPT_lSA_il.has_indirect_call, 0
	.section	.AMDGPU.csdata,"",@progbits
; Kernel info:
; codeLenInByte = 1676
; TotalNumSgprs: 48
; NumVgprs: 30
; ScratchSize: 0
; MemoryBound: 0
; FloatMode: 240
; IeeeMode: 1
; LDSByteSize: 0 bytes/workgroup (compile time only)
; SGPRBlocks: 0
; VGPRBlocks: 1
; NumSGPRsForWavesPerEU: 48
; NumVGPRsForWavesPerEU: 30
; NamedBarCnt: 0
; Occupancy: 16
; WaveLimiterHint : 0
; COMPUTE_PGM_RSRC2:SCRATCH_EN: 0
; COMPUTE_PGM_RSRC2:USER_SGPR: 2
; COMPUTE_PGM_RSRC2:TRAP_HANDLER: 0
; COMPUTE_PGM_RSRC2:TGID_X_EN: 1
; COMPUTE_PGM_RSRC2:TGID_Y_EN: 1
; COMPUTE_PGM_RSRC2:TGID_Z_EN: 0
; COMPUTE_PGM_RSRC2:TIDIG_COMP_CNT: 0
	.section	.text._ZN9rocsolver6v33100L13conj_in_placeI19rocblas_complex_numIdEiPKPS3_TnNSt9enable_ifIX18rocblas_is_complexIT_EEiE4typeELi0EEEvT0_SB_T1_lSB_l,"axG",@progbits,_ZN9rocsolver6v33100L13conj_in_placeI19rocblas_complex_numIdEiPKPS3_TnNSt9enable_ifIX18rocblas_is_complexIT_EEiE4typeELi0EEEvT0_SB_T1_lSB_l,comdat
	.globl	_ZN9rocsolver6v33100L13conj_in_placeI19rocblas_complex_numIdEiPKPS3_TnNSt9enable_ifIX18rocblas_is_complexIT_EEiE4typeELi0EEEvT0_SB_T1_lSB_l ; -- Begin function _ZN9rocsolver6v33100L13conj_in_placeI19rocblas_complex_numIdEiPKPS3_TnNSt9enable_ifIX18rocblas_is_complexIT_EEiE4typeELi0EEEvT0_SB_T1_lSB_l
	.p2align	8
	.type	_ZN9rocsolver6v33100L13conj_in_placeI19rocblas_complex_numIdEiPKPS3_TnNSt9enable_ifIX18rocblas_is_complexIT_EEiE4typeELi0EEEvT0_SB_T1_lSB_l,@function
_ZN9rocsolver6v33100L13conj_in_placeI19rocblas_complex_numIdEiPKPS3_TnNSt9enable_ifIX18rocblas_is_complexIT_EEiE4typeELi0EEEvT0_SB_T1_lSB_l: ; @_ZN9rocsolver6v33100L13conj_in_placeI19rocblas_complex_numIdEiPKPS3_TnNSt9enable_ifIX18rocblas_is_complexIT_EEiE4typeELi0EEEvT0_SB_T1_lSB_l
; %bb.0:
	s_clause 0x1
	s_load_b32 s2, s[0:1], 0x34
	s_load_b64 s[4:5], s[0:1], 0x0
	s_bfe_u32 s7, ttmp6, 0x40010
	s_bfe_u32 s10, ttmp6, 0x4000c
	s_and_b32 s6, ttmp7, 0xffff
	s_add_co_i32 s7, s7, 1
	s_add_co_i32 s10, s10, 1
	s_bfe_u32 s8, ttmp6, 0x40004
	s_and_b32 s9, ttmp6, 15
	s_mul_i32 s7, s6, s7
	s_mul_i32 s10, ttmp9, s10
	s_getreg_b32 s3, hwreg(HW_REG_IB_STS2, 6, 4)
	v_and_b32_e32 v1, 0x3ff, v0
	v_bfe_u32 v2, v0, 10, 10
	s_add_co_i32 s8, s8, s7
	s_add_co_i32 s9, s9, s10
	s_wait_kmcnt 0x0
	s_lshr_b32 s7, s2, 16
	s_and_b32 s2, s2, 0xffff
	s_cmp_eq_u32 s3, 0
	s_cselect_b32 s9, ttmp9, s9
	s_cselect_b32 s6, s6, s8
	v_mad_u32 v0, s9, s2, v1
	v_mad_u32 v2, s6, s7, v2
	s_delay_alu instid0(VALU_DEP_2) | instskip(NEXT) | instid1(VALU_DEP_2)
	v_cmp_gt_i32_e32 vcc_lo, s4, v0
	v_cmp_gt_i32_e64 s2, s5, v2
	s_and_b32 s2, vcc_lo, s2
	s_delay_alu instid0(SALU_CYCLE_1)
	s_and_saveexec_b32 s4, s2
	s_cbranch_execz .LBB80_2
; %bb.1:
	s_clause 0x1
	s_load_b32 s8, s[0:1], 0x18
	s_load_b128 s[4:7], s[0:1], 0x8
	v_dual_ashrrev_i32 v3, 31, v2 :: v_dual_ashrrev_i32 v1, 31, v0
	s_wait_xcnt 0x0
	s_bfe_u32 s0, ttmp6, 0x40014
	s_lshr_b32 s1, ttmp7, 16
	s_add_co_i32 s0, s0, 1
	s_bfe_u32 s2, ttmp6, 0x40008
	s_mul_i32 s0, s1, s0
	s_delay_alu instid0(SALU_CYCLE_1)
	s_add_co_i32 s2, s2, s0
	s_wait_kmcnt 0x0
	s_ashr_i32 s9, s8, 31
	s_cmp_eq_u32 s3, 0
	v_mul_u64_e32 v[4:5], s[8:9], v[2:3]
	s_cselect_b32 s0, s1, s2
	s_lshl_b64 s[2:3], s[6:7], 4
	s_load_b64 s[0:1], s[4:5], s0 offset:0x0 scale_offset
	s_wait_kmcnt 0x0
	s_add_nc_u64 s[0:1], s[0:1], s[2:3]
	s_delay_alu instid0(VALU_DEP_1) | instid1(SALU_CYCLE_1)
	v_lshl_add_u64 v[4:5], v[4:5], 4, s[0:1]
	s_delay_alu instid0(VALU_DEP_1)
	v_lshl_add_u64 v[4:5], v[0:1], 4, v[4:5]
	v_mad_u32 v0, v2, s8, v0
	flat_load_b128 v[4:7], v[4:5]
	s_wait_loadcnt_dscnt 0x0
	v_xor_b32_e32 v7, 0x80000000, v7
	flat_store_b128 v0, v[4:7], s[0:1] scale_offset
.LBB80_2:
	s_endpgm
	.section	.rodata,"a",@progbits
	.p2align	6, 0x0
	.amdhsa_kernel _ZN9rocsolver6v33100L13conj_in_placeI19rocblas_complex_numIdEiPKPS3_TnNSt9enable_ifIX18rocblas_is_complexIT_EEiE4typeELi0EEEvT0_SB_T1_lSB_l
		.amdhsa_group_segment_fixed_size 0
		.amdhsa_private_segment_fixed_size 0
		.amdhsa_kernarg_size 296
		.amdhsa_user_sgpr_count 2
		.amdhsa_user_sgpr_dispatch_ptr 0
		.amdhsa_user_sgpr_queue_ptr 0
		.amdhsa_user_sgpr_kernarg_segment_ptr 1
		.amdhsa_user_sgpr_dispatch_id 0
		.amdhsa_user_sgpr_kernarg_preload_length 0
		.amdhsa_user_sgpr_kernarg_preload_offset 0
		.amdhsa_user_sgpr_private_segment_size 0
		.amdhsa_wavefront_size32 1
		.amdhsa_uses_dynamic_stack 0
		.amdhsa_enable_private_segment 0
		.amdhsa_system_sgpr_workgroup_id_x 1
		.amdhsa_system_sgpr_workgroup_id_y 1
		.amdhsa_system_sgpr_workgroup_id_z 1
		.amdhsa_system_sgpr_workgroup_info 0
		.amdhsa_system_vgpr_workitem_id 1
		.amdhsa_next_free_vgpr 8
		.amdhsa_next_free_sgpr 11
		.amdhsa_named_barrier_count 0
		.amdhsa_reserve_vcc 1
		.amdhsa_float_round_mode_32 0
		.amdhsa_float_round_mode_16_64 0
		.amdhsa_float_denorm_mode_32 3
		.amdhsa_float_denorm_mode_16_64 3
		.amdhsa_fp16_overflow 0
		.amdhsa_memory_ordered 1
		.amdhsa_forward_progress 1
		.amdhsa_inst_pref_size 3
		.amdhsa_round_robin_scheduling 0
		.amdhsa_exception_fp_ieee_invalid_op 0
		.amdhsa_exception_fp_denorm_src 0
		.amdhsa_exception_fp_ieee_div_zero 0
		.amdhsa_exception_fp_ieee_overflow 0
		.amdhsa_exception_fp_ieee_underflow 0
		.amdhsa_exception_fp_ieee_inexact 0
		.amdhsa_exception_int_div_zero 0
	.end_amdhsa_kernel
	.section	.text._ZN9rocsolver6v33100L13conj_in_placeI19rocblas_complex_numIdEiPKPS3_TnNSt9enable_ifIX18rocblas_is_complexIT_EEiE4typeELi0EEEvT0_SB_T1_lSB_l,"axG",@progbits,_ZN9rocsolver6v33100L13conj_in_placeI19rocblas_complex_numIdEiPKPS3_TnNSt9enable_ifIX18rocblas_is_complexIT_EEiE4typeELi0EEEvT0_SB_T1_lSB_l,comdat
.Lfunc_end80:
	.size	_ZN9rocsolver6v33100L13conj_in_placeI19rocblas_complex_numIdEiPKPS3_TnNSt9enable_ifIX18rocblas_is_complexIT_EEiE4typeELi0EEEvT0_SB_T1_lSB_l, .Lfunc_end80-_ZN9rocsolver6v33100L13conj_in_placeI19rocblas_complex_numIdEiPKPS3_TnNSt9enable_ifIX18rocblas_is_complexIT_EEiE4typeELi0EEEvT0_SB_T1_lSB_l
                                        ; -- End function
	.set _ZN9rocsolver6v33100L13conj_in_placeI19rocblas_complex_numIdEiPKPS3_TnNSt9enable_ifIX18rocblas_is_complexIT_EEiE4typeELi0EEEvT0_SB_T1_lSB_l.num_vgpr, 8
	.set _ZN9rocsolver6v33100L13conj_in_placeI19rocblas_complex_numIdEiPKPS3_TnNSt9enable_ifIX18rocblas_is_complexIT_EEiE4typeELi0EEEvT0_SB_T1_lSB_l.num_agpr, 0
	.set _ZN9rocsolver6v33100L13conj_in_placeI19rocblas_complex_numIdEiPKPS3_TnNSt9enable_ifIX18rocblas_is_complexIT_EEiE4typeELi0EEEvT0_SB_T1_lSB_l.numbered_sgpr, 11
	.set _ZN9rocsolver6v33100L13conj_in_placeI19rocblas_complex_numIdEiPKPS3_TnNSt9enable_ifIX18rocblas_is_complexIT_EEiE4typeELi0EEEvT0_SB_T1_lSB_l.num_named_barrier, 0
	.set _ZN9rocsolver6v33100L13conj_in_placeI19rocblas_complex_numIdEiPKPS3_TnNSt9enable_ifIX18rocblas_is_complexIT_EEiE4typeELi0EEEvT0_SB_T1_lSB_l.private_seg_size, 0
	.set _ZN9rocsolver6v33100L13conj_in_placeI19rocblas_complex_numIdEiPKPS3_TnNSt9enable_ifIX18rocblas_is_complexIT_EEiE4typeELi0EEEvT0_SB_T1_lSB_l.uses_vcc, 1
	.set _ZN9rocsolver6v33100L13conj_in_placeI19rocblas_complex_numIdEiPKPS3_TnNSt9enable_ifIX18rocblas_is_complexIT_EEiE4typeELi0EEEvT0_SB_T1_lSB_l.uses_flat_scratch, 0
	.set _ZN9rocsolver6v33100L13conj_in_placeI19rocblas_complex_numIdEiPKPS3_TnNSt9enable_ifIX18rocblas_is_complexIT_EEiE4typeELi0EEEvT0_SB_T1_lSB_l.has_dyn_sized_stack, 0
	.set _ZN9rocsolver6v33100L13conj_in_placeI19rocblas_complex_numIdEiPKPS3_TnNSt9enable_ifIX18rocblas_is_complexIT_EEiE4typeELi0EEEvT0_SB_T1_lSB_l.has_recursion, 0
	.set _ZN9rocsolver6v33100L13conj_in_placeI19rocblas_complex_numIdEiPKPS3_TnNSt9enable_ifIX18rocblas_is_complexIT_EEiE4typeELi0EEEvT0_SB_T1_lSB_l.has_indirect_call, 0
	.section	.AMDGPU.csdata,"",@progbits
; Kernel info:
; codeLenInByte = 360
; TotalNumSgprs: 13
; NumVgprs: 8
; ScratchSize: 0
; MemoryBound: 0
; FloatMode: 240
; IeeeMode: 1
; LDSByteSize: 0 bytes/workgroup (compile time only)
; SGPRBlocks: 0
; VGPRBlocks: 0
; NumSGPRsForWavesPerEU: 13
; NumVGPRsForWavesPerEU: 8
; NamedBarCnt: 0
; Occupancy: 16
; WaveLimiterHint : 1
; COMPUTE_PGM_RSRC2:SCRATCH_EN: 0
; COMPUTE_PGM_RSRC2:USER_SGPR: 2
; COMPUTE_PGM_RSRC2:TRAP_HANDLER: 0
; COMPUTE_PGM_RSRC2:TGID_X_EN: 1
; COMPUTE_PGM_RSRC2:TGID_Y_EN: 1
; COMPUTE_PGM_RSRC2:TGID_Z_EN: 1
; COMPUTE_PGM_RSRC2:TIDIG_COMP_CNT: 1
	.section	.text._ZN9rocsolver6v33100L21larft_kernel_backwardI19rocblas_complex_numIdEPKPS3_EEv15rocblas_storev_iiT0_iilPT_lSA_il,"axG",@progbits,_ZN9rocsolver6v33100L21larft_kernel_backwardI19rocblas_complex_numIdEPKPS3_EEv15rocblas_storev_iiT0_iilPT_lSA_il,comdat
	.globl	_ZN9rocsolver6v33100L21larft_kernel_backwardI19rocblas_complex_numIdEPKPS3_EEv15rocblas_storev_iiT0_iilPT_lSA_il ; -- Begin function _ZN9rocsolver6v33100L21larft_kernel_backwardI19rocblas_complex_numIdEPKPS3_EEv15rocblas_storev_iiT0_iilPT_lSA_il
	.p2align	8
	.type	_ZN9rocsolver6v33100L21larft_kernel_backwardI19rocblas_complex_numIdEPKPS3_EEv15rocblas_storev_iiT0_iilPT_lSA_il,@function
_ZN9rocsolver6v33100L21larft_kernel_backwardI19rocblas_complex_numIdEPKPS3_EEv15rocblas_storev_iiT0_iilPT_lSA_il: ; @_ZN9rocsolver6v33100L21larft_kernel_backwardI19rocblas_complex_numIdEPKPS3_EEv15rocblas_storev_iiT0_iilPT_lSA_il
; %bb.0:
	s_clause 0x1
	s_load_b32 s2, s[0:1], 0x5c
	s_load_b64 s[4:5], s[0:1], 0x10
	s_bfe_u32 s3, ttmp6, 0x40010
	s_bfe_u32 s6, ttmp6, 0x40004
	s_add_co_i32 s3, s3, 1
	s_getreg_b32 s7, hwreg(HW_REG_IB_STS2, 6, 4)
	s_mul_i32 s3, ttmp7, s3
	s_clause 0x1
	s_load_b64 s[18:19], s[0:1], 0x48
	s_load_b96 s[8:10], s[0:1], 0x0
	s_add_co_i32 s6, s6, s3
	v_dual_add_nc_u32 v1, 1, v0 :: v_dual_lshlrev_b32 v2, 4, v0
	s_mov_b32 s11, 0
	s_wait_kmcnt 0x0
	s_and_b32 s3, s2, 0xffff
	s_cmp_eq_u32 s7, 0
	s_cselect_b32 s16, ttmp7, s6
	s_delay_alu instid0(SALU_CYCLE_1) | instskip(NEXT) | instid1(SALU_CYCLE_1)
	s_ashr_i32 s17, s16, 31
	s_lshl_b64 s[6:7], s[16:17], 3
	s_mul_u64 s[18:19], s[18:19], s[16:17]
	s_add_nc_u64 s[20:21], s[4:5], s[6:7]
	s_clause 0x1
	s_load_b96 s[12:14], s[0:1], 0x38
	s_load_b128 s[4:7], s[0:1], 0x28
	s_load_b64 s[24:25], s[20:21], 0x0
	v_cmp_gt_i32_e64 s2, s10, v0
	s_lshl_b64 s[18:19], s[18:19], 4
	s_wait_kmcnt 0x0
	s_add_nc_u64 s[12:13], s[12:13], s[18:19]
	s_and_saveexec_b32 s15, s2
	s_cbranch_execz .LBB81_5
; %bb.1:
	s_lshl_b32 s18, s10, 4
	v_dual_add_nc_u32 v3, 1, v0 :: v_dual_mov_b32 v5, v0
	v_add3_u32 v4, 0, s18, v2
	s_lshl_b32 s19, s3, 4
.LBB81_2:                               ; =>This Loop Header: Depth=1
                                        ;     Child Loop BB81_3 Depth 2
	s_delay_alu instid0(VALU_DEP_1)
	v_dual_mov_b32 v6, v5 :: v_dual_mov_b32 v7, v4
	s_mov_b32 s20, 0
	s_mov_b32 s21, 0
.LBB81_3:                               ;   Parent Loop BB81_2 Depth=1
                                        ; =>  This Inner Loop Header: Depth=2
	global_load_b128 v[8:11], v6, s[12:13] scale_offset
	s_add_co_i32 s21, s21, 1
	s_wait_xcnt 0x0
	v_add_nc_u32_e32 v6, s14, v6
	v_cmp_eq_u32_e32 vcc_lo, s21, v3
	s_or_b32 s20, vcc_lo, s20
	s_wait_loadcnt 0x0
	ds_store_2addr_b64 v7, v[8:9], v[10:11] offset1:1
	v_add_nc_u32_e32 v7, s18, v7
	s_and_not1_b32 exec_lo, exec_lo, s20
	s_cbranch_execnz .LBB81_3
; %bb.4:                                ;   in Loop: Header=BB81_2 Depth=1
	s_or_b32 exec_lo, exec_lo, s20
	v_dual_add_nc_u32 v5, s3, v5 :: v_dual_add_nc_u32 v3, s3, v3
	v_add_nc_u32_e32 v4, s19, v4
	s_delay_alu instid0(VALU_DEP_2) | instskip(SKIP_1) | instid1(SALU_CYCLE_1)
	v_cmp_le_i32_e32 vcc_lo, s10, v5
	s_or_b32 s11, vcc_lo, s11
	s_and_not1_b32 exec_lo, exec_lo, s11
	s_cbranch_execnz .LBB81_2
.LBB81_5:
	s_or_b32 exec_lo, exec_lo, s15
	s_cmp_lt_i32 s10, 2
	s_wait_dscnt 0x0
	s_barrier_signal -1
	s_barrier_wait -1
	s_cbranch_scc1 .LBB81_30
; %bb.6:
	s_load_b64 s[0:1], s[0:1], 0x18
	s_mul_u64 s[6:7], s[6:7], s[16:17]
	s_lshl_b32 s11, s10, 4
	s_lshl_b64 s[6:7], s[6:7], 4
	s_add_co_i32 s16, s10, -2
	s_sub_co_i32 s15, s9, s10
	s_add_co_i32 s33, s11, 0
	s_add_nc_u64 s[20:21], s[4:5], s[6:7]
	s_mov_b32 s17, 0
	v_mov_b32_e32 v3, 0
	s_mov_b32 s19, s17
	s_wait_kmcnt 0x0
	s_ashr_i32 s5, s0, 31
	s_cmp_lg_u32 s8, 0xb5
	s_mov_b32 s4, s0
	s_cselect_b32 s38, -1, 0
	s_lshl_b64 s[26:27], s[16:17], 4
	s_add_co_i32 s39, s9, -2
	s_lshl_b64 s[4:5], s[4:5], 4
	s_add_nc_u64 s[8:9], s[24:25], s[26:27]
	v_mul_lo_u32 v14, v0, s1
	s_add_nc_u64 s[8:9], s[8:9], s[4:5]
	s_add_co_i32 s0, s11, 16
	v_add_nc_u64_e32 v[4:5], s[8:9], v[2:3]
	s_mul_i32 s0, s10, s0
	s_mov_b32 s6, s1
	s_ashr_i32 s7, s1, 31
	s_add_co_i32 s0, s0, 0
	s_lshl_b64 s[8:9], s[6:7], 4
	s_add_nc_u64 s[6:7], s[4:5], s[26:27]
	v_add_nc_u64_e32 v[4:5], 24, v[4:5]
	s_add_nc_u64 s[4:5], s[24:25], s[4:5]
	v_add3_u32 v15, s0, v2, -16
	s_add_nc_u64 s[26:27], s[4:5], 8
	s_add_co_i32 s4, s10, -1
	s_mul_i32 s22, s1, s16
	s_lshl_b32 s18, s3, 4
	s_add_nc_u64 s[24:25], s[24:25], s[6:7]
	s_mul_i32 s28, s1, s4
	s_mul_i32 s17, s1, s3
	s_xor_b32 s40, s11, -16
	s_branch .LBB81_8
.LBB81_7:                               ;   in Loop: Header=BB81_8 Depth=1
	s_or_b32 exec_lo, exec_lo, s0
	v_add_nc_u64_e32 v[4:5], -16, v[4:5]
	v_add_nc_u32_e32 v15, s40, v15
	s_add_co_i32 s0, s16, -1
	s_add_co_i32 s39, s39, -1
	s_sub_co_i32 s22, s22, s1
	s_sub_co_i32 s28, s28, s1
	s_add_nc_u64 s[24:25], s[24:25], -16
	s_cmp_lt_i32 s16, 1
	s_wait_xcnt 0x0
	s_mov_b32 s16, s0
	s_wait_dscnt 0x0
	s_barrier_signal -1
	s_barrier_wait -1
	s_cbranch_scc1 .LBB81_30
.LBB81_8:                               ; =>This Loop Header: Depth=1
                                        ;     Child Loop BB81_12 Depth 2
                                        ;       Child Loop BB81_14 Depth 3
                                        ;     Child Loop BB81_21 Depth 2
                                        ;       Child Loop BB81_23 Depth 3
	;; [unrolled: 2-line block ×3, first 2 shown]
	s_not_b32 s0, s16
	s_lshl_b32 s4, s16, 4
	s_add_co_i32 s41, s10, s0
	s_mul_i32 s0, s16, s10
	s_add_co_i32 s42, s33, s4
	s_lshl_b32 s0, s0, 4
	s_add_co_i32 s34, s16, s15
	s_add_co_i32 s42, s42, s0
	v_cmp_gt_i32_e64 s0, s41, v0
	s_and_b32 vcc_lo, exec_lo, s38
	s_mov_b32 s4, -1
	s_cbranch_vccz .LBB81_16
; %bb.9:                                ;   in Loop: Header=BB81_8 Depth=1
	s_and_saveexec_b32 s23, s0
	s_cbranch_execz .LBB81_15
; %bb.10:                               ;   in Loop: Header=BB81_8 Depth=1
	s_load_b128 s[4:7], s[20:21], s16 offset:0x0 scale_offset
	v_mov_b64_e32 v[6:7], v[4:5]
	v_mov_b32_e32 v12, v0
	s_cmp_gt_i32 s34, 0
	s_mov_b32 s29, 0
	s_cselect_b32 s0, -1, 0
	s_branch .LBB81_12
.LBB81_11:                              ;   in Loop: Header=BB81_12 Depth=2
	s_wait_kmcnt 0x0
	s_delay_alu instid0(VALU_DEP_1) | instskip(NEXT) | instid1(VALU_DEP_2)
	v_mul_f64_e32 v[16:17], s[6:7], v[8:9]
	v_dual_mul_f64 v[18:19], s[6:7], v[10:11] :: v_dual_lshlrev_b32 v13, 4, v12
	v_add_nc_u32_e32 v12, s3, v12
	v_add_nc_u64_e32 v[6:7], s[18:19], v[6:7]
	s_delay_alu instid0(VALU_DEP_4) | instskip(NEXT) | instid1(VALU_DEP_4)
	v_fma_f64 v[16:17], v[10:11], s[4:5], -v[16:17]
	v_fmac_f64_e32 v[18:19], s[4:5], v[8:9]
	v_dual_add_nc_u32 v8, s42, v13 :: v_dual_add_nc_u32 v13, 0, v13
	v_cmp_le_i32_e32 vcc_lo, s41, v12
	ds_load_2addr_b64 v[8:11], v8 offset0:2 offset1:3
	s_or_b32 s29, vcc_lo, s29
	s_wait_dscnt 0x0
	v_add_f64_e32 v[8:9], v[8:9], v[16:17]
	v_add_f64_e32 v[10:11], v[10:11], v[18:19]
	ds_store_2addr_b64 v13, v[8:9], v[10:11] offset1:1
	s_and_not1_b32 exec_lo, exec_lo, s29
	s_cbranch_execz .LBB81_15
.LBB81_12:                              ;   Parent Loop BB81_8 Depth=1
                                        ; =>  This Loop Header: Depth=2
                                        ;       Child Loop BB81_14 Depth 3
	v_mov_b64_e32 v[8:9], 0
	v_mov_b64_e32 v[10:11], 0
	s_and_not1_b32 vcc_lo, exec_lo, s0
	s_cbranch_vccnz .LBB81_11
; %bb.13:                               ;   in Loop: Header=BB81_12 Depth=2
	s_mov_b32 s35, 0
	s_mov_b64 s[30:31], 0
.LBB81_14:                              ;   Parent Loop BB81_8 Depth=1
                                        ;     Parent Loop BB81_12 Depth=2
                                        ; =>    This Inner Loop Header: Depth=3
	s_delay_alu instid0(SALU_CYCLE_1)
	v_add_nc_u64_e32 v[24:25], s[30:31], v[6:7]
	s_add_nc_u64 s[36:37], s[24:25], s[30:31]
	s_add_co_i32 s35, s35, 1
	s_add_nc_u64 s[30:31], s[30:31], s[8:9]
	s_cmp_eq_u32 s39, s35
	flat_load_b128 v[16:19], v3, s[36:37]
	flat_load_b128 v[20:23], v[24:25] offset:-8
	s_wait_loadcnt_dscnt 0x0
	s_wait_xcnt 0x0
	v_mul_f64_e32 v[24:25], v[18:19], v[22:23]
	v_mul_f64_e32 v[18:19], v[18:19], v[20:21]
	s_delay_alu instid0(VALU_DEP_2) | instskip(NEXT) | instid1(VALU_DEP_2)
	v_fmac_f64_e32 v[24:25], v[16:17], v[20:21]
	v_fma_f64 v[16:17], v[16:17], v[22:23], -v[18:19]
	s_delay_alu instid0(VALU_DEP_2) | instskip(NEXT) | instid1(VALU_DEP_2)
	v_add_f64_e32 v[10:11], v[10:11], v[24:25]
	v_add_f64_e32 v[8:9], v[8:9], v[16:17]
	s_cbranch_scc0 .LBB81_14
	s_branch .LBB81_11
.LBB81_15:                              ;   in Loop: Header=BB81_8 Depth=1
	s_or_b32 exec_lo, exec_lo, s23
	s_mov_b32 s4, 0
.LBB81_16:                              ;   in Loop: Header=BB81_8 Depth=1
	s_delay_alu instid0(SALU_CYCLE_1)
	s_and_not1_b32 vcc_lo, exec_lo, s4
	s_cbranch_vccnz .LBB81_25
; %bb.17:                               ;   in Loop: Header=BB81_8 Depth=1
	s_mov_b32 s0, exec_lo
	v_cmpx_gt_i32_e64 s41, v0
	s_cbranch_execz .LBB81_24
; %bb.18:                               ;   in Loop: Header=BB81_8 Depth=1
	s_load_b128 s[4:7], s[20:21], s16 offset:0x0 scale_offset
	s_ashr_i32 s23, s22, 31
	s_ashr_i32 s29, s28, 31
	s_lshl_b64 s[30:31], s[22:23], 4
	s_lshl_b64 s[36:37], s[28:29], 4
	v_dual_mov_b32 v6, v14 :: v_dual_mov_b32 v16, v0
	s_cmp_gt_i32 s34, 0
	s_add_nc_u64 s[30:31], s[26:27], s[30:31]
	s_cselect_b32 s23, -1, 0
	s_mov_b32 s29, 0
	s_add_nc_u64 s[34:35], s[26:27], s[36:37]
	s_branch .LBB81_21
.LBB81_19:                              ;   in Loop: Header=BB81_21 Depth=2
	v_mov_b64_e32 v[8:9], 0
	v_mov_b64_e32 v[10:11], 0
.LBB81_20:                              ;   in Loop: Header=BB81_21 Depth=2
	s_wait_kmcnt 0x0
	s_delay_alu instid0(VALU_DEP_1) | instskip(NEXT) | instid1(VALU_DEP_2)
	v_dual_mul_f64 v[18:19], s[6:7], v[10:11] :: v_dual_lshlrev_b32 v7, 4, v16
	v_dual_mul_f64 v[12:13], s[6:7], v[8:9] :: v_dual_add_nc_u32 v6, s17, v6
	v_add_nc_u32_e32 v16, s3, v16
	s_delay_alu instid0(VALU_DEP_1) | instskip(SKIP_1) | instid1(VALU_DEP_4)
	v_cmp_le_i32_e32 vcc_lo, s41, v16
	s_or_b32 s29, vcc_lo, s29
	v_fmac_f64_e32 v[18:19], s[4:5], v[8:9]
	v_add_nc_u32_e32 v8, s42, v7
	v_fma_f64 v[12:13], v[10:11], s[4:5], -v[12:13]
	v_add_nc_u32_e32 v7, 0, v7
	ds_load_2addr_b64 v[8:11], v8 offset0:2 offset1:3
	s_wait_dscnt 0x0
	v_add_f64_e32 v[10:11], v[10:11], v[18:19]
	v_add_f64_e32 v[8:9], v[8:9], v[12:13]
	ds_store_2addr_b64 v7, v[8:9], v[10:11] offset1:1
	s_and_not1_b32 exec_lo, exec_lo, s29
	s_cbranch_execz .LBB81_24
.LBB81_21:                              ;   Parent Loop BB81_8 Depth=1
                                        ; =>  This Loop Header: Depth=2
                                        ;       Child Loop BB81_23 Depth 3
	s_and_not1_b32 vcc_lo, exec_lo, s23
	s_cbranch_vccnz .LBB81_19
; %bb.22:                               ;   in Loop: Header=BB81_21 Depth=2
	v_ashrrev_i32_e32 v7, 31, v6
	v_mov_b64_e32 v[8:9], 0
	v_mov_b64_e32 v[10:11], 0
	s_mov_b32 s43, 0
	s_mov_b64 s[36:37], s[30:31]
	v_lshl_add_u64 v[12:13], v[6:7], 4, s[34:35]
.LBB81_23:                              ;   Parent Loop BB81_8 Depth=1
                                        ;     Parent Loop BB81_21 Depth=2
                                        ; =>    This Inner Loop Header: Depth=3
	flat_load_b128 v[18:21], v[12:13] offset:-8
	flat_load_b128 v[22:25], v3, s[36:37] offset:-8
	s_wait_xcnt 0x1
	v_add_nc_u64_e32 v[12:13], 16, v[12:13]
	s_add_co_i32 s43, s43, 1
	s_wait_xcnt 0x0
	s_add_nc_u64 s[36:37], s[36:37], 16
	s_cmp_eq_u32 s39, s43
	s_wait_loadcnt_dscnt 0x0
	v_mul_f64_e32 v[26:27], v[20:21], v[24:25]
	v_mul_f64_e32 v[20:21], v[20:21], v[22:23]
	s_delay_alu instid0(VALU_DEP_2) | instskip(NEXT) | instid1(VALU_DEP_2)
	v_fmac_f64_e32 v[26:27], v[18:19], v[22:23]
	v_fma_f64 v[18:19], v[18:19], v[24:25], -v[20:21]
	s_delay_alu instid0(VALU_DEP_2) | instskip(NEXT) | instid1(VALU_DEP_2)
	v_add_f64_e32 v[10:11], v[10:11], v[26:27]
	v_add_f64_e32 v[8:9], v[8:9], v[18:19]
	s_cbranch_scc0 .LBB81_23
	s_branch .LBB81_20
.LBB81_24:                              ;   in Loop: Header=BB81_8 Depth=1
	s_or_b32 exec_lo, exec_lo, s0
.LBB81_25:                              ;   in Loop: Header=BB81_8 Depth=1
	s_delay_alu instid0(SALU_CYCLE_1)
	s_mov_b32 s0, exec_lo
	s_wait_dscnt 0x0
	s_barrier_signal -1
	s_barrier_wait -1
	v_cmpx_gt_i32_e64 s41, v0
	s_cbranch_execz .LBB81_7
; %bb.26:                               ;   in Loop: Header=BB81_8 Depth=1
	v_dual_mov_b32 v10, v15 :: v_dual_mov_b32 v11, v0
	s_mov_b32 s4, 0
.LBB81_27:                              ;   Parent Loop BB81_8 Depth=1
                                        ; =>  This Loop Header: Depth=2
                                        ;       Child Loop BB81_28 Depth 3
	v_mov_b64_e32 v[6:7], 0
	v_mov_b64_e32 v[8:9], 0
	s_delay_alu instid0(VALU_DEP_3)
	v_mov_b32_e32 v12, v10
	s_mov_b32 s6, -1
	s_mov_b32 s5, 0
	s_mov_b32 s7, 0
.LBB81_28:                              ;   Parent Loop BB81_8 Depth=1
                                        ;     Parent Loop BB81_27 Depth=2
                                        ; =>    This Inner Loop Header: Depth=3
	s_delay_alu instid0(SALU_CYCLE_1)
	v_mov_b32_e32 v13, s7
	s_add_co_i32 s6, s6, 1
	s_add_co_i32 s7, s7, 16
	v_cmp_eq_u32_e32 vcc_lo, s6, v11
	ds_load_2addr_b64 v[16:19], v12 offset1:1
	ds_load_2addr_b64 v[20:23], v13 offset1:1
	v_add_nc_u32_e32 v12, s11, v12
	s_or_b32 s5, vcc_lo, s5
	s_wait_dscnt 0x0
	v_mul_f64_e32 v[24:25], v[22:23], v[18:19]
	v_mul_f64_e32 v[18:19], v[20:21], v[18:19]
	s_delay_alu instid0(VALU_DEP_2) | instskip(NEXT) | instid1(VALU_DEP_2)
	v_fma_f64 v[20:21], v[20:21], v[16:17], -v[24:25]
	v_fmac_f64_e32 v[18:19], v[22:23], v[16:17]
	s_delay_alu instid0(VALU_DEP_2) | instskip(NEXT) | instid1(VALU_DEP_2)
	v_add_f64_e32 v[6:7], v[6:7], v[20:21]
	v_add_f64_e32 v[8:9], v[8:9], v[18:19]
	s_and_not1_b32 exec_lo, exec_lo, s5
	s_cbranch_execnz .LBB81_28
; %bb.29:                               ;   in Loop: Header=BB81_27 Depth=2
	s_or_b32 exec_lo, exec_lo, s5
	v_lshl_add_u32 v12, v11, 4, s42
	v_dual_add_nc_u32 v11, s3, v11 :: v_dual_add_nc_u32 v10, s18, v10
	ds_store_2addr_b64 v12, v[6:7], v[8:9] offset0:2 offset1:3
	v_cmp_le_i32_e32 vcc_lo, s41, v11
	s_or_b32 s4, vcc_lo, s4
	s_delay_alu instid0(SALU_CYCLE_1)
	s_and_not1_b32 exec_lo, exec_lo, s4
	s_cbranch_execnz .LBB81_27
	s_branch .LBB81_7
.LBB81_30:
	s_and_saveexec_b32 s0, s2
	s_cbranch_execz .LBB81_35
; %bb.31:
	s_lshl_b32 s0, s10, 4
	s_mov_b32 s1, 0
	v_add3_u32 v2, 0, s0, v2
	s_lshl_b32 s2, s3, 4
.LBB81_32:                              ; =>This Loop Header: Depth=1
                                        ;     Child Loop BB81_33 Depth 2
	s_delay_alu instid0(VALU_DEP_1)
	v_dual_mov_b32 v3, v2 :: v_dual_mov_b32 v4, v0
	s_mov_b32 s4, 0
	s_mov_b32 s5, 0
.LBB81_33:                              ;   Parent Loop BB81_32 Depth=1
                                        ; =>  This Inner Loop Header: Depth=2
	ds_load_2addr_b64 v[6:9], v3 offset1:1
	s_add_co_i32 s5, s5, 1
	v_add_nc_u32_e32 v3, s0, v3
	v_cmp_eq_u32_e32 vcc_lo, s5, v1
	s_or_b32 s4, vcc_lo, s4
	s_wait_dscnt 0x0
	global_store_b128 v4, v[6:9], s[12:13] scale_offset
	s_wait_xcnt 0x0
	v_add_nc_u32_e32 v4, s14, v4
	s_and_not1_b32 exec_lo, exec_lo, s4
	s_cbranch_execnz .LBB81_33
; %bb.34:                               ;   in Loop: Header=BB81_32 Depth=1
	s_or_b32 exec_lo, exec_lo, s4
	v_dual_add_nc_u32 v0, s3, v0 :: v_dual_add_nc_u32 v1, s3, v1
	v_add_nc_u32_e32 v2, s2, v2
	s_delay_alu instid0(VALU_DEP_2) | instskip(SKIP_1) | instid1(SALU_CYCLE_1)
	v_cmp_le_i32_e32 vcc_lo, s10, v0
	s_or_b32 s1, vcc_lo, s1
	s_and_not1_b32 exec_lo, exec_lo, s1
	s_cbranch_execnz .LBB81_32
.LBB81_35:
	s_endpgm
	.section	.rodata,"a",@progbits
	.p2align	6, 0x0
	.amdhsa_kernel _ZN9rocsolver6v33100L21larft_kernel_backwardI19rocblas_complex_numIdEPKPS3_EEv15rocblas_storev_iiT0_iilPT_lSA_il
		.amdhsa_group_segment_fixed_size 0
		.amdhsa_private_segment_fixed_size 0
		.amdhsa_kernarg_size 336
		.amdhsa_user_sgpr_count 2
		.amdhsa_user_sgpr_dispatch_ptr 0
		.amdhsa_user_sgpr_queue_ptr 0
		.amdhsa_user_sgpr_kernarg_segment_ptr 1
		.amdhsa_user_sgpr_dispatch_id 0
		.amdhsa_user_sgpr_kernarg_preload_length 0
		.amdhsa_user_sgpr_kernarg_preload_offset 0
		.amdhsa_user_sgpr_private_segment_size 0
		.amdhsa_wavefront_size32 1
		.amdhsa_uses_dynamic_stack 0
		.amdhsa_enable_private_segment 0
		.amdhsa_system_sgpr_workgroup_id_x 1
		.amdhsa_system_sgpr_workgroup_id_y 1
		.amdhsa_system_sgpr_workgroup_id_z 0
		.amdhsa_system_sgpr_workgroup_info 0
		.amdhsa_system_vgpr_workitem_id 0
		.amdhsa_next_free_vgpr 28
		.amdhsa_next_free_sgpr 44
		.amdhsa_named_barrier_count 0
		.amdhsa_reserve_vcc 1
		.amdhsa_float_round_mode_32 0
		.amdhsa_float_round_mode_16_64 0
		.amdhsa_float_denorm_mode_32 3
		.amdhsa_float_denorm_mode_16_64 3
		.amdhsa_fp16_overflow 0
		.amdhsa_memory_ordered 1
		.amdhsa_forward_progress 1
		.amdhsa_inst_pref_size 13
		.amdhsa_round_robin_scheduling 0
		.amdhsa_exception_fp_ieee_invalid_op 0
		.amdhsa_exception_fp_denorm_src 0
		.amdhsa_exception_fp_ieee_div_zero 0
		.amdhsa_exception_fp_ieee_overflow 0
		.amdhsa_exception_fp_ieee_underflow 0
		.amdhsa_exception_fp_ieee_inexact 0
		.amdhsa_exception_int_div_zero 0
	.end_amdhsa_kernel
	.section	.text._ZN9rocsolver6v33100L21larft_kernel_backwardI19rocblas_complex_numIdEPKPS3_EEv15rocblas_storev_iiT0_iilPT_lSA_il,"axG",@progbits,_ZN9rocsolver6v33100L21larft_kernel_backwardI19rocblas_complex_numIdEPKPS3_EEv15rocblas_storev_iiT0_iilPT_lSA_il,comdat
.Lfunc_end81:
	.size	_ZN9rocsolver6v33100L21larft_kernel_backwardI19rocblas_complex_numIdEPKPS3_EEv15rocblas_storev_iiT0_iilPT_lSA_il, .Lfunc_end81-_ZN9rocsolver6v33100L21larft_kernel_backwardI19rocblas_complex_numIdEPKPS3_EEv15rocblas_storev_iiT0_iilPT_lSA_il
                                        ; -- End function
	.set _ZN9rocsolver6v33100L21larft_kernel_backwardI19rocblas_complex_numIdEPKPS3_EEv15rocblas_storev_iiT0_iilPT_lSA_il.num_vgpr, 28
	.set _ZN9rocsolver6v33100L21larft_kernel_backwardI19rocblas_complex_numIdEPKPS3_EEv15rocblas_storev_iiT0_iilPT_lSA_il.num_agpr, 0
	.set _ZN9rocsolver6v33100L21larft_kernel_backwardI19rocblas_complex_numIdEPKPS3_EEv15rocblas_storev_iiT0_iilPT_lSA_il.numbered_sgpr, 44
	.set _ZN9rocsolver6v33100L21larft_kernel_backwardI19rocblas_complex_numIdEPKPS3_EEv15rocblas_storev_iiT0_iilPT_lSA_il.num_named_barrier, 0
	.set _ZN9rocsolver6v33100L21larft_kernel_backwardI19rocblas_complex_numIdEPKPS3_EEv15rocblas_storev_iiT0_iilPT_lSA_il.private_seg_size, 0
	.set _ZN9rocsolver6v33100L21larft_kernel_backwardI19rocblas_complex_numIdEPKPS3_EEv15rocblas_storev_iiT0_iilPT_lSA_il.uses_vcc, 1
	.set _ZN9rocsolver6v33100L21larft_kernel_backwardI19rocblas_complex_numIdEPKPS3_EEv15rocblas_storev_iiT0_iilPT_lSA_il.uses_flat_scratch, 0
	.set _ZN9rocsolver6v33100L21larft_kernel_backwardI19rocblas_complex_numIdEPKPS3_EEv15rocblas_storev_iiT0_iilPT_lSA_il.has_dyn_sized_stack, 0
	.set _ZN9rocsolver6v33100L21larft_kernel_backwardI19rocblas_complex_numIdEPKPS3_EEv15rocblas_storev_iiT0_iilPT_lSA_il.has_recursion, 0
	.set _ZN9rocsolver6v33100L21larft_kernel_backwardI19rocblas_complex_numIdEPKPS3_EEv15rocblas_storev_iiT0_iilPT_lSA_il.has_indirect_call, 0
	.section	.AMDGPU.csdata,"",@progbits
; Kernel info:
; codeLenInByte = 1628
; TotalNumSgprs: 46
; NumVgprs: 28
; ScratchSize: 0
; MemoryBound: 1
; FloatMode: 240
; IeeeMode: 1
; LDSByteSize: 0 bytes/workgroup (compile time only)
; SGPRBlocks: 0
; VGPRBlocks: 1
; NumSGPRsForWavesPerEU: 46
; NumVGPRsForWavesPerEU: 28
; NamedBarCnt: 0
; Occupancy: 16
; WaveLimiterHint : 0
; COMPUTE_PGM_RSRC2:SCRATCH_EN: 0
; COMPUTE_PGM_RSRC2:USER_SGPR: 2
; COMPUTE_PGM_RSRC2:TRAP_HANDLER: 0
; COMPUTE_PGM_RSRC2:TGID_X_EN: 1
; COMPUTE_PGM_RSRC2:TGID_Y_EN: 1
; COMPUTE_PGM_RSRC2:TGID_Z_EN: 0
; COMPUTE_PGM_RSRC2:TIDIG_COMP_CNT: 0
	.section	.text._ZN9rocsolver6v33100L9copymatA1I19rocblas_complex_numIdEPKPS3_EEviiT0_iilPT_,"axG",@progbits,_ZN9rocsolver6v33100L9copymatA1I19rocblas_complex_numIdEPKPS3_EEviiT0_iilPT_,comdat
	.globl	_ZN9rocsolver6v33100L9copymatA1I19rocblas_complex_numIdEPKPS3_EEviiT0_iilPT_ ; -- Begin function _ZN9rocsolver6v33100L9copymatA1I19rocblas_complex_numIdEPKPS3_EEviiT0_iilPT_
	.p2align	8
	.type	_ZN9rocsolver6v33100L9copymatA1I19rocblas_complex_numIdEPKPS3_EEviiT0_iilPT_,@function
_ZN9rocsolver6v33100L9copymatA1I19rocblas_complex_numIdEPKPS3_EEviiT0_iilPT_: ; @_ZN9rocsolver6v33100L9copymatA1I19rocblas_complex_numIdEPKPS3_EEviiT0_iilPT_
; %bb.0:
	s_clause 0x1
	s_load_b32 s2, s[0:1], 0x34
	s_load_b64 s[4:5], s[0:1], 0x0
	s_bfe_u32 s7, ttmp6, 0x40010
	s_bfe_u32 s10, ttmp6, 0x4000c
	s_and_b32 s3, ttmp7, 0xffff
	s_add_co_i32 s7, s7, 1
	s_add_co_i32 s10, s10, 1
	s_bfe_u32 s8, ttmp6, 0x40004
	s_and_b32 s9, ttmp6, 15
	s_mul_i32 s7, s3, s7
	s_mul_i32 s10, ttmp9, s10
	s_getreg_b32 s6, hwreg(HW_REG_IB_STS2, 6, 4)
	v_and_b32_e32 v1, 0x3ff, v0
	v_bfe_u32 v0, v0, 10, 10
	s_add_co_i32 s8, s8, s7
	s_add_co_i32 s9, s9, s10
	s_wait_kmcnt 0x0
	s_lshr_b32 s7, s2, 16
	s_and_b32 s2, s2, 0xffff
	s_cmp_eq_u32 s6, 0
	s_cselect_b32 s3, s3, s8
	s_cselect_b32 s8, ttmp9, s9
	v_mad_u32 v0, s3, s7, v0
	v_mad_u32 v1, s8, s2, v1
	s_mov_b32 s3, 0
	s_delay_alu instid0(VALU_DEP_2) | instskip(NEXT) | instid1(VALU_DEP_2)
	v_cmp_gt_u32_e32 vcc_lo, s4, v0
	v_cmp_gt_u32_e64 s2, s5, v1
	s_and_b32 s2, s2, vcc_lo
	s_delay_alu instid0(SALU_CYCLE_1)
	s_and_saveexec_b32 s7, s2
	s_cbranch_execz .LBB82_2
; %bb.1:
	s_load_b128 s[8:11], s[0:1], 0x8
	s_bfe_u32 s2, ttmp6, 0x40014
	s_lshr_b32 s12, ttmp7, 16
	s_add_co_i32 s2, s2, 1
	s_bfe_u32 s14, ttmp6, 0x40008
	s_mul_i32 s2, s12, s2
	s_ashr_i32 s7, s4, 31
	s_ashr_i32 s13, s5, 31
	s_add_co_i32 s14, s14, s2
	s_cmp_eq_u32 s6, 0
	s_mov_b32 s6, s4
	s_cselect_b32 s2, s12, s14
	s_mov_b32 s12, s5
	s_load_b64 s[14:15], s[0:1], 0x20
	s_wait_kmcnt 0x0
	s_load_b64 s[16:17], s[8:9], s2 offset:0x0 scale_offset
	v_mad_u32 v2, v1, s11, v0
	s_ashr_i32 s1, s10, 31
	s_mov_b32 s0, s10
	v_mad_u32 v0, v1, s4, v0
	s_lshl_b64 s[0:1], s[0:1], 4
	s_wait_kmcnt 0x0
	s_add_nc_u64 s[0:1], s[16:17], s[0:1]
	flat_load_b128 v[2:5], v2, s[0:1] scale_offset
	s_wait_xcnt 0x0
	s_mul_u64 s[0:1], s[6:7], s[2:3]
	s_delay_alu instid0(SALU_CYCLE_1) | instskip(NEXT) | instid1(SALU_CYCLE_1)
	s_mul_u64 s[0:1], s[0:1], s[12:13]
	s_lshl_b64 s[0:1], s[0:1], 4
	s_delay_alu instid0(SALU_CYCLE_1)
	s_add_nc_u64 s[0:1], s[14:15], s[0:1]
	s_wait_loadcnt_dscnt 0x0
	global_store_b128 v0, v[2:5], s[0:1] scale_offset
.LBB82_2:
	s_endpgm
	.section	.rodata,"a",@progbits
	.p2align	6, 0x0
	.amdhsa_kernel _ZN9rocsolver6v33100L9copymatA1I19rocblas_complex_numIdEPKPS3_EEviiT0_iilPT_
		.amdhsa_group_segment_fixed_size 0
		.amdhsa_private_segment_fixed_size 0
		.amdhsa_kernarg_size 296
		.amdhsa_user_sgpr_count 2
		.amdhsa_user_sgpr_dispatch_ptr 0
		.amdhsa_user_sgpr_queue_ptr 0
		.amdhsa_user_sgpr_kernarg_segment_ptr 1
		.amdhsa_user_sgpr_dispatch_id 0
		.amdhsa_user_sgpr_kernarg_preload_length 0
		.amdhsa_user_sgpr_kernarg_preload_offset 0
		.amdhsa_user_sgpr_private_segment_size 0
		.amdhsa_wavefront_size32 1
		.amdhsa_uses_dynamic_stack 0
		.amdhsa_enable_private_segment 0
		.amdhsa_system_sgpr_workgroup_id_x 1
		.amdhsa_system_sgpr_workgroup_id_y 1
		.amdhsa_system_sgpr_workgroup_id_z 1
		.amdhsa_system_sgpr_workgroup_info 0
		.amdhsa_system_vgpr_workitem_id 1
		.amdhsa_next_free_vgpr 6
		.amdhsa_next_free_sgpr 18
		.amdhsa_named_barrier_count 0
		.amdhsa_reserve_vcc 1
		.amdhsa_float_round_mode_32 0
		.amdhsa_float_round_mode_16_64 0
		.amdhsa_float_denorm_mode_32 3
		.amdhsa_float_denorm_mode_16_64 3
		.amdhsa_fp16_overflow 0
		.amdhsa_memory_ordered 1
		.amdhsa_forward_progress 1
		.amdhsa_inst_pref_size 3
		.amdhsa_round_robin_scheduling 0
		.amdhsa_exception_fp_ieee_invalid_op 0
		.amdhsa_exception_fp_denorm_src 0
		.amdhsa_exception_fp_ieee_div_zero 0
		.amdhsa_exception_fp_ieee_overflow 0
		.amdhsa_exception_fp_ieee_underflow 0
		.amdhsa_exception_fp_ieee_inexact 0
		.amdhsa_exception_int_div_zero 0
	.end_amdhsa_kernel
	.section	.text._ZN9rocsolver6v33100L9copymatA1I19rocblas_complex_numIdEPKPS3_EEviiT0_iilPT_,"axG",@progbits,_ZN9rocsolver6v33100L9copymatA1I19rocblas_complex_numIdEPKPS3_EEviiT0_iilPT_,comdat
.Lfunc_end82:
	.size	_ZN9rocsolver6v33100L9copymatA1I19rocblas_complex_numIdEPKPS3_EEviiT0_iilPT_, .Lfunc_end82-_ZN9rocsolver6v33100L9copymatA1I19rocblas_complex_numIdEPKPS3_EEviiT0_iilPT_
                                        ; -- End function
	.set _ZN9rocsolver6v33100L9copymatA1I19rocblas_complex_numIdEPKPS3_EEviiT0_iilPT_.num_vgpr, 6
	.set _ZN9rocsolver6v33100L9copymatA1I19rocblas_complex_numIdEPKPS3_EEviiT0_iilPT_.num_agpr, 0
	.set _ZN9rocsolver6v33100L9copymatA1I19rocblas_complex_numIdEPKPS3_EEviiT0_iilPT_.numbered_sgpr, 18
	.set _ZN9rocsolver6v33100L9copymatA1I19rocblas_complex_numIdEPKPS3_EEviiT0_iilPT_.num_named_barrier, 0
	.set _ZN9rocsolver6v33100L9copymatA1I19rocblas_complex_numIdEPKPS3_EEviiT0_iilPT_.private_seg_size, 0
	.set _ZN9rocsolver6v33100L9copymatA1I19rocblas_complex_numIdEPKPS3_EEviiT0_iilPT_.uses_vcc, 1
	.set _ZN9rocsolver6v33100L9copymatA1I19rocblas_complex_numIdEPKPS3_EEviiT0_iilPT_.uses_flat_scratch, 0
	.set _ZN9rocsolver6v33100L9copymatA1I19rocblas_complex_numIdEPKPS3_EEviiT0_iilPT_.has_dyn_sized_stack, 0
	.set _ZN9rocsolver6v33100L9copymatA1I19rocblas_complex_numIdEPKPS3_EEviiT0_iilPT_.has_recursion, 0
	.set _ZN9rocsolver6v33100L9copymatA1I19rocblas_complex_numIdEPKPS3_EEviiT0_iilPT_.has_indirect_call, 0
	.section	.AMDGPU.csdata,"",@progbits
; Kernel info:
; codeLenInByte = 360
; TotalNumSgprs: 20
; NumVgprs: 6
; ScratchSize: 0
; MemoryBound: 0
; FloatMode: 240
; IeeeMode: 1
; LDSByteSize: 0 bytes/workgroup (compile time only)
; SGPRBlocks: 0
; VGPRBlocks: 0
; NumSGPRsForWavesPerEU: 20
; NumVGPRsForWavesPerEU: 6
; NamedBarCnt: 0
; Occupancy: 16
; WaveLimiterHint : 0
; COMPUTE_PGM_RSRC2:SCRATCH_EN: 0
; COMPUTE_PGM_RSRC2:USER_SGPR: 2
; COMPUTE_PGM_RSRC2:TRAP_HANDLER: 0
; COMPUTE_PGM_RSRC2:TGID_X_EN: 1
; COMPUTE_PGM_RSRC2:TGID_Y_EN: 1
; COMPUTE_PGM_RSRC2:TGID_Z_EN: 1
; COMPUTE_PGM_RSRC2:TIDIG_COMP_CNT: 1
	.section	.text._ZN9rocsolver6v33100L8addmatA1I19rocblas_complex_numIdEPKPS3_EEviiT0_iilPT_,"axG",@progbits,_ZN9rocsolver6v33100L8addmatA1I19rocblas_complex_numIdEPKPS3_EEviiT0_iilPT_,comdat
	.globl	_ZN9rocsolver6v33100L8addmatA1I19rocblas_complex_numIdEPKPS3_EEviiT0_iilPT_ ; -- Begin function _ZN9rocsolver6v33100L8addmatA1I19rocblas_complex_numIdEPKPS3_EEviiT0_iilPT_
	.p2align	8
	.type	_ZN9rocsolver6v33100L8addmatA1I19rocblas_complex_numIdEPKPS3_EEviiT0_iilPT_,@function
_ZN9rocsolver6v33100L8addmatA1I19rocblas_complex_numIdEPKPS3_EEviiT0_iilPT_: ; @_ZN9rocsolver6v33100L8addmatA1I19rocblas_complex_numIdEPKPS3_EEviiT0_iilPT_
; %bb.0:
	s_clause 0x1
	s_load_b32 s2, s[0:1], 0x34
	s_load_b64 s[4:5], s[0:1], 0x0
	s_bfe_u32 s7, ttmp6, 0x40010
	s_bfe_u32 s10, ttmp6, 0x4000c
	s_and_b32 s3, ttmp7, 0xffff
	s_add_co_i32 s7, s7, 1
	s_add_co_i32 s10, s10, 1
	s_bfe_u32 s8, ttmp6, 0x40004
	s_and_b32 s9, ttmp6, 15
	s_mul_i32 s7, s3, s7
	s_mul_i32 s10, ttmp9, s10
	s_getreg_b32 s6, hwreg(HW_REG_IB_STS2, 6, 4)
	v_and_b32_e32 v1, 0x3ff, v0
	v_bfe_u32 v0, v0, 10, 10
	s_add_co_i32 s8, s8, s7
	s_add_co_i32 s9, s9, s10
	s_wait_kmcnt 0x0
	s_lshr_b32 s7, s2, 16
	s_and_b32 s2, s2, 0xffff
	s_cmp_eq_u32 s6, 0
	s_cselect_b32 s3, s3, s8
	s_cselect_b32 s8, ttmp9, s9
	v_mad_u32 v0, s3, s7, v0
	v_mad_u32 v1, s8, s2, v1
	s_mov_b32 s3, 0
	s_delay_alu instid0(VALU_DEP_2) | instskip(NEXT) | instid1(VALU_DEP_2)
	v_cmp_gt_u32_e32 vcc_lo, s4, v0
	v_cmp_gt_u32_e64 s2, s5, v1
	s_and_b32 s2, s2, vcc_lo
	s_delay_alu instid0(SALU_CYCLE_1)
	s_and_saveexec_b32 s7, s2
	s_cbranch_execz .LBB83_2
; %bb.1:
	s_load_b128 s[8:11], s[0:1], 0x8
	s_bfe_u32 s2, ttmp6, 0x40014
	s_lshr_b32 s12, ttmp7, 16
	s_add_co_i32 s2, s2, 1
	s_bfe_u32 s14, ttmp6, 0x40008
	s_mul_i32 s2, s12, s2
	s_ashr_i32 s7, s4, 31
	s_ashr_i32 s13, s5, 31
	s_add_co_i32 s14, s14, s2
	s_cmp_eq_u32 s6, 0
	v_mad_u32 v8, v1, s4, v0
	s_cselect_b32 s2, s12, s14
	s_mov_b32 s6, s4
	s_mov_b32 s12, s5
	s_load_b64 s[14:15], s[0:1], 0x20
	s_wait_kmcnt 0x0
	s_load_b64 s[16:17], s[8:9], s2 offset:0x0 scale_offset
	v_mad_u32 v9, v1, s11, v0
	s_mul_u64 s[0:1], s[6:7], s[2:3]
	s_ashr_i32 s3, s10, 31
	s_mul_u64 s[0:1], s[0:1], s[12:13]
	s_wait_xcnt 0x0
	s_mov_b32 s2, s10
	s_lshl_b64 s[0:1], s[0:1], 4
	s_lshl_b64 s[2:3], s[2:3], 4
	s_add_nc_u64 s[0:1], s[14:15], s[0:1]
	s_wait_kmcnt 0x0
	s_add_nc_u64 s[2:3], s[16:17], s[2:3]
	global_load_b128 v[0:3], v8, s[0:1] scale_offset
	flat_load_b128 v[4:7], v9, s[2:3] scale_offset
	s_wait_loadcnt_dscnt 0x0
	v_add_f64_e64 v[0:1], v[4:5], -v[0:1]
	v_add_f64_e64 v[2:3], v[6:7], -v[2:3]
	flat_store_b128 v9, v[0:3], s[2:3] scale_offset
.LBB83_2:
	s_endpgm
	.section	.rodata,"a",@progbits
	.p2align	6, 0x0
	.amdhsa_kernel _ZN9rocsolver6v33100L8addmatA1I19rocblas_complex_numIdEPKPS3_EEviiT0_iilPT_
		.amdhsa_group_segment_fixed_size 0
		.amdhsa_private_segment_fixed_size 0
		.amdhsa_kernarg_size 296
		.amdhsa_user_sgpr_count 2
		.amdhsa_user_sgpr_dispatch_ptr 0
		.amdhsa_user_sgpr_queue_ptr 0
		.amdhsa_user_sgpr_kernarg_segment_ptr 1
		.amdhsa_user_sgpr_dispatch_id 0
		.amdhsa_user_sgpr_kernarg_preload_length 0
		.amdhsa_user_sgpr_kernarg_preload_offset 0
		.amdhsa_user_sgpr_private_segment_size 0
		.amdhsa_wavefront_size32 1
		.amdhsa_uses_dynamic_stack 0
		.amdhsa_enable_private_segment 0
		.amdhsa_system_sgpr_workgroup_id_x 1
		.amdhsa_system_sgpr_workgroup_id_y 1
		.amdhsa_system_sgpr_workgroup_id_z 1
		.amdhsa_system_sgpr_workgroup_info 0
		.amdhsa_system_vgpr_workitem_id 1
		.amdhsa_next_free_vgpr 10
		.amdhsa_next_free_sgpr 18
		.amdhsa_named_barrier_count 0
		.amdhsa_reserve_vcc 1
		.amdhsa_float_round_mode_32 0
		.amdhsa_float_round_mode_16_64 0
		.amdhsa_float_denorm_mode_32 3
		.amdhsa_float_denorm_mode_16_64 3
		.amdhsa_fp16_overflow 0
		.amdhsa_memory_ordered 1
		.amdhsa_forward_progress 1
		.amdhsa_inst_pref_size 3
		.amdhsa_round_robin_scheduling 0
		.amdhsa_exception_fp_ieee_invalid_op 0
		.amdhsa_exception_fp_denorm_src 0
		.amdhsa_exception_fp_ieee_div_zero 0
		.amdhsa_exception_fp_ieee_overflow 0
		.amdhsa_exception_fp_ieee_underflow 0
		.amdhsa_exception_fp_ieee_inexact 0
		.amdhsa_exception_int_div_zero 0
	.end_amdhsa_kernel
	.section	.text._ZN9rocsolver6v33100L8addmatA1I19rocblas_complex_numIdEPKPS3_EEviiT0_iilPT_,"axG",@progbits,_ZN9rocsolver6v33100L8addmatA1I19rocblas_complex_numIdEPKPS3_EEviiT0_iilPT_,comdat
.Lfunc_end83:
	.size	_ZN9rocsolver6v33100L8addmatA1I19rocblas_complex_numIdEPKPS3_EEviiT0_iilPT_, .Lfunc_end83-_ZN9rocsolver6v33100L8addmatA1I19rocblas_complex_numIdEPKPS3_EEviiT0_iilPT_
                                        ; -- End function
	.set _ZN9rocsolver6v33100L8addmatA1I19rocblas_complex_numIdEPKPS3_EEviiT0_iilPT_.num_vgpr, 10
	.set _ZN9rocsolver6v33100L8addmatA1I19rocblas_complex_numIdEPKPS3_EEviiT0_iilPT_.num_agpr, 0
	.set _ZN9rocsolver6v33100L8addmatA1I19rocblas_complex_numIdEPKPS3_EEviiT0_iilPT_.numbered_sgpr, 18
	.set _ZN9rocsolver6v33100L8addmatA1I19rocblas_complex_numIdEPKPS3_EEviiT0_iilPT_.num_named_barrier, 0
	.set _ZN9rocsolver6v33100L8addmatA1I19rocblas_complex_numIdEPKPS3_EEviiT0_iilPT_.private_seg_size, 0
	.set _ZN9rocsolver6v33100L8addmatA1I19rocblas_complex_numIdEPKPS3_EEviiT0_iilPT_.uses_vcc, 1
	.set _ZN9rocsolver6v33100L8addmatA1I19rocblas_complex_numIdEPKPS3_EEviiT0_iilPT_.uses_flat_scratch, 0
	.set _ZN9rocsolver6v33100L8addmatA1I19rocblas_complex_numIdEPKPS3_EEviiT0_iilPT_.has_dyn_sized_stack, 0
	.set _ZN9rocsolver6v33100L8addmatA1I19rocblas_complex_numIdEPKPS3_EEviiT0_iilPT_.has_recursion, 0
	.set _ZN9rocsolver6v33100L8addmatA1I19rocblas_complex_numIdEPKPS3_EEviiT0_iilPT_.has_indirect_call, 0
	.section	.AMDGPU.csdata,"",@progbits
; Kernel info:
; codeLenInByte = 380
; TotalNumSgprs: 20
; NumVgprs: 10
; ScratchSize: 0
; MemoryBound: 0
; FloatMode: 240
; IeeeMode: 1
; LDSByteSize: 0 bytes/workgroup (compile time only)
; SGPRBlocks: 0
; VGPRBlocks: 0
; NumSGPRsForWavesPerEU: 20
; NumVGPRsForWavesPerEU: 10
; NamedBarCnt: 0
; Occupancy: 16
; WaveLimiterHint : 1
; COMPUTE_PGM_RSRC2:SCRATCH_EN: 0
; COMPUTE_PGM_RSRC2:USER_SGPR: 2
; COMPUTE_PGM_RSRC2:TRAP_HANDLER: 0
; COMPUTE_PGM_RSRC2:TGID_X_EN: 1
; COMPUTE_PGM_RSRC2:TGID_Y_EN: 1
; COMPUTE_PGM_RSRC2:TGID_Z_EN: 1
; COMPUTE_PGM_RSRC2:TIDIG_COMP_CNT: 1
	.section	.text._ZN9rocsolver6v33100L8set_diagI19rocblas_complex_numIdEiS3_PKPS3_TnNSt9enable_ifIXoont18rocblas_is_complexIT_E18rocblas_is_complexIT1_EEiE4typeELi0EEEvPS9_llT2_lT0_lSE_b,"axG",@progbits,_ZN9rocsolver6v33100L8set_diagI19rocblas_complex_numIdEiS3_PKPS3_TnNSt9enable_ifIXoont18rocblas_is_complexIT_E18rocblas_is_complexIT1_EEiE4typeELi0EEEvPS9_llT2_lT0_lSE_b,comdat
	.globl	_ZN9rocsolver6v33100L8set_diagI19rocblas_complex_numIdEiS3_PKPS3_TnNSt9enable_ifIXoont18rocblas_is_complexIT_E18rocblas_is_complexIT1_EEiE4typeELi0EEEvPS9_llT2_lT0_lSE_b ; -- Begin function _ZN9rocsolver6v33100L8set_diagI19rocblas_complex_numIdEiS3_PKPS3_TnNSt9enable_ifIXoont18rocblas_is_complexIT_E18rocblas_is_complexIT1_EEiE4typeELi0EEEvPS9_llT2_lT0_lSE_b
	.p2align	8
	.type	_ZN9rocsolver6v33100L8set_diagI19rocblas_complex_numIdEiS3_PKPS3_TnNSt9enable_ifIXoont18rocblas_is_complexIT_E18rocblas_is_complexIT1_EEiE4typeELi0EEEvPS9_llT2_lT0_lSE_b,@function
_ZN9rocsolver6v33100L8set_diagI19rocblas_complex_numIdEiS3_PKPS3_TnNSt9enable_ifIXoont18rocblas_is_complexIT_E18rocblas_is_complexIT1_EEiE4typeELi0EEEvPS9_llT2_lT0_lSE_b: ; @_ZN9rocsolver6v33100L8set_diagI19rocblas_complex_numIdEiS3_PKPS3_TnNSt9enable_ifIXoont18rocblas_is_complexIT_E18rocblas_is_complexIT1_EEiE4typeELi0EEEvPS9_llT2_lT0_lSE_b
; %bb.0:
	s_load_u16 s4, s[0:1], 0x4e
	s_bfe_u32 s2, ttmp6, 0x40010
	s_bfe_u32 s6, ttmp6, 0x40004
	s_add_co_i32 s5, s2, 1
	s_load_b64 s[2:3], s[0:1], 0x38
	s_mul_i32 s5, ttmp7, s5
	s_getreg_b32 s12, hwreg(HW_REG_IB_STS2, 6, 4)
	s_add_co_i32 s6, s6, s5
	v_bfe_u32 v0, v0, 10, 10
	s_cmp_eq_u32 s12, 0
	s_cselect_b32 s5, ttmp7, s6
	s_wait_kmcnt 0x0
	s_delay_alu instid0(VALU_DEP_1) | instskip(NEXT) | instid1(VALU_DEP_1)
	v_mad_u32 v0, s5, s4, v0
	v_cmp_gt_i32_e32 vcc_lo, s2, v0
	s_and_saveexec_b32 s2, vcc_lo
	s_cbranch_execz .LBB84_5
; %bb.1:
	s_load_b256 s[4:11], s[0:1], 0x0
	s_bitcmp1_b32 s3, 0
	s_cselect_b32 s16, -1, 0
	s_bfe_u32 s2, ttmp6, 0x4000c
	s_and_b32 s3, ttmp6, 15
	s_add_co_i32 s2, s2, 1
	s_delay_alu instid0(SALU_CYCLE_1) | instskip(NEXT) | instid1(SALU_CYCLE_1)
	s_mul_i32 s2, ttmp9, s2
	s_add_co_i32 s3, s3, s2
	s_cmp_eq_u32 s12, 0
	s_wait_xcnt 0x0
	s_load_b96 s[0:2], s[0:1], 0x20
	s_cselect_b32 s12, ttmp9, s3
	s_and_b32 vcc_lo, exec_lo, s16
	s_ashr_i32 s13, s12, 31
	s_delay_alu instid0(SALU_CYCLE_1)
	s_lshl_b64 s[14:15], s[12:13], 3
	s_wait_kmcnt 0x0
	s_add_nc_u64 s[10:11], s[10:11], s[14:15]
	s_lshl_b64 s[6:7], s[6:7], 4
	s_load_b64 s[10:11], s[10:11], 0x0
	v_mad_u32 v2, v0, s2, v0
	s_lshl_b64 s[0:1], s[0:1], 4
	s_mul_u64 s[2:3], s[8:9], s[12:13]
	s_delay_alu instid0(SALU_CYCLE_1) | instskip(NEXT) | instid1(SALU_CYCLE_1)
	s_lshl_b64 s[2:3], s[2:3], 4
	s_add_nc_u64 s[2:3], s[4:5], s[2:3]
	s_delay_alu instid0(SALU_CYCLE_1) | instskip(SKIP_2) | instid1(VALU_DEP_1)
	s_add_nc_u64 s[2:3], s[2:3], s[6:7]
	s_wait_kmcnt 0x0
	s_add_nc_u64 s[0:1], s[10:11], s[0:1]
	v_ashrrev_i32_e32 v3, 31, v2
	flat_load_b128 v[6:9], v2, s[0:1] scale_offset
	v_lshl_add_u64 v[4:5], v[2:3], 4, s[0:1]
	s_wait_loadcnt_dscnt 0x0
	global_store_b128 v0, v[6:9], s[2:3] scale_offset
	s_cbranch_vccnz .LBB84_3
; %bb.2:
	flat_load_b128 v[0:3], v[4:5]
	s_branch .LBB84_4
.LBB84_3:
	s_wait_xcnt 0x0
	v_mov_b64_e32 v[0:1], 1.0
	v_mov_b64_e32 v[2:3], 0
.LBB84_4:
	s_wait_loadcnt_dscnt 0x0
	flat_store_b128 v[4:5], v[0:3]
.LBB84_5:
	s_endpgm
	.section	.rodata,"a",@progbits
	.p2align	6, 0x0
	.amdhsa_kernel _ZN9rocsolver6v33100L8set_diagI19rocblas_complex_numIdEiS3_PKPS3_TnNSt9enable_ifIXoont18rocblas_is_complexIT_E18rocblas_is_complexIT1_EEiE4typeELi0EEEvPS9_llT2_lT0_lSE_b
		.amdhsa_group_segment_fixed_size 0
		.amdhsa_private_segment_fixed_size 0
		.amdhsa_kernarg_size 320
		.amdhsa_user_sgpr_count 2
		.amdhsa_user_sgpr_dispatch_ptr 0
		.amdhsa_user_sgpr_queue_ptr 0
		.amdhsa_user_sgpr_kernarg_segment_ptr 1
		.amdhsa_user_sgpr_dispatch_id 0
		.amdhsa_user_sgpr_kernarg_preload_length 0
		.amdhsa_user_sgpr_kernarg_preload_offset 0
		.amdhsa_user_sgpr_private_segment_size 0
		.amdhsa_wavefront_size32 1
		.amdhsa_uses_dynamic_stack 0
		.amdhsa_enable_private_segment 0
		.amdhsa_system_sgpr_workgroup_id_x 1
		.amdhsa_system_sgpr_workgroup_id_y 1
		.amdhsa_system_sgpr_workgroup_id_z 0
		.amdhsa_system_sgpr_workgroup_info 0
		.amdhsa_system_vgpr_workitem_id 1
		.amdhsa_next_free_vgpr 10
		.amdhsa_next_free_sgpr 17
		.amdhsa_named_barrier_count 0
		.amdhsa_reserve_vcc 1
		.amdhsa_float_round_mode_32 0
		.amdhsa_float_round_mode_16_64 0
		.amdhsa_float_denorm_mode_32 3
		.amdhsa_float_denorm_mode_16_64 3
		.amdhsa_fp16_overflow 0
		.amdhsa_memory_ordered 1
		.amdhsa_forward_progress 1
		.amdhsa_inst_pref_size 3
		.amdhsa_round_robin_scheduling 0
		.amdhsa_exception_fp_ieee_invalid_op 0
		.amdhsa_exception_fp_denorm_src 0
		.amdhsa_exception_fp_ieee_div_zero 0
		.amdhsa_exception_fp_ieee_overflow 0
		.amdhsa_exception_fp_ieee_underflow 0
		.amdhsa_exception_fp_ieee_inexact 0
		.amdhsa_exception_int_div_zero 0
	.end_amdhsa_kernel
	.section	.text._ZN9rocsolver6v33100L8set_diagI19rocblas_complex_numIdEiS3_PKPS3_TnNSt9enable_ifIXoont18rocblas_is_complexIT_E18rocblas_is_complexIT1_EEiE4typeELi0EEEvPS9_llT2_lT0_lSE_b,"axG",@progbits,_ZN9rocsolver6v33100L8set_diagI19rocblas_complex_numIdEiS3_PKPS3_TnNSt9enable_ifIXoont18rocblas_is_complexIT_E18rocblas_is_complexIT1_EEiE4typeELi0EEEvPS9_llT2_lT0_lSE_b,comdat
.Lfunc_end84:
	.size	_ZN9rocsolver6v33100L8set_diagI19rocblas_complex_numIdEiS3_PKPS3_TnNSt9enable_ifIXoont18rocblas_is_complexIT_E18rocblas_is_complexIT1_EEiE4typeELi0EEEvPS9_llT2_lT0_lSE_b, .Lfunc_end84-_ZN9rocsolver6v33100L8set_diagI19rocblas_complex_numIdEiS3_PKPS3_TnNSt9enable_ifIXoont18rocblas_is_complexIT_E18rocblas_is_complexIT1_EEiE4typeELi0EEEvPS9_llT2_lT0_lSE_b
                                        ; -- End function
	.set _ZN9rocsolver6v33100L8set_diagI19rocblas_complex_numIdEiS3_PKPS3_TnNSt9enable_ifIXoont18rocblas_is_complexIT_E18rocblas_is_complexIT1_EEiE4typeELi0EEEvPS9_llT2_lT0_lSE_b.num_vgpr, 10
	.set _ZN9rocsolver6v33100L8set_diagI19rocblas_complex_numIdEiS3_PKPS3_TnNSt9enable_ifIXoont18rocblas_is_complexIT_E18rocblas_is_complexIT1_EEiE4typeELi0EEEvPS9_llT2_lT0_lSE_b.num_agpr, 0
	.set _ZN9rocsolver6v33100L8set_diagI19rocblas_complex_numIdEiS3_PKPS3_TnNSt9enable_ifIXoont18rocblas_is_complexIT_E18rocblas_is_complexIT1_EEiE4typeELi0EEEvPS9_llT2_lT0_lSE_b.numbered_sgpr, 17
	.set _ZN9rocsolver6v33100L8set_diagI19rocblas_complex_numIdEiS3_PKPS3_TnNSt9enable_ifIXoont18rocblas_is_complexIT_E18rocblas_is_complexIT1_EEiE4typeELi0EEEvPS9_llT2_lT0_lSE_b.num_named_barrier, 0
	.set _ZN9rocsolver6v33100L8set_diagI19rocblas_complex_numIdEiS3_PKPS3_TnNSt9enable_ifIXoont18rocblas_is_complexIT_E18rocblas_is_complexIT1_EEiE4typeELi0EEEvPS9_llT2_lT0_lSE_b.private_seg_size, 0
	.set _ZN9rocsolver6v33100L8set_diagI19rocblas_complex_numIdEiS3_PKPS3_TnNSt9enable_ifIXoont18rocblas_is_complexIT_E18rocblas_is_complexIT1_EEiE4typeELi0EEEvPS9_llT2_lT0_lSE_b.uses_vcc, 1
	.set _ZN9rocsolver6v33100L8set_diagI19rocblas_complex_numIdEiS3_PKPS3_TnNSt9enable_ifIXoont18rocblas_is_complexIT_E18rocblas_is_complexIT1_EEiE4typeELi0EEEvPS9_llT2_lT0_lSE_b.uses_flat_scratch, 0
	.set _ZN9rocsolver6v33100L8set_diagI19rocblas_complex_numIdEiS3_PKPS3_TnNSt9enable_ifIXoont18rocblas_is_complexIT_E18rocblas_is_complexIT1_EEiE4typeELi0EEEvPS9_llT2_lT0_lSE_b.has_dyn_sized_stack, 0
	.set _ZN9rocsolver6v33100L8set_diagI19rocblas_complex_numIdEiS3_PKPS3_TnNSt9enable_ifIXoont18rocblas_is_complexIT_E18rocblas_is_complexIT1_EEiE4typeELi0EEEvPS9_llT2_lT0_lSE_b.has_recursion, 0
	.set _ZN9rocsolver6v33100L8set_diagI19rocblas_complex_numIdEiS3_PKPS3_TnNSt9enable_ifIXoont18rocblas_is_complexIT_E18rocblas_is_complexIT1_EEiE4typeELi0EEEvPS9_llT2_lT0_lSE_b.has_indirect_call, 0
	.section	.AMDGPU.csdata,"",@progbits
; Kernel info:
; codeLenInByte = 328
; TotalNumSgprs: 19
; NumVgprs: 10
; ScratchSize: 0
; MemoryBound: 1
; FloatMode: 240
; IeeeMode: 1
; LDSByteSize: 0 bytes/workgroup (compile time only)
; SGPRBlocks: 0
; VGPRBlocks: 0
; NumSGPRsForWavesPerEU: 19
; NumVGPRsForWavesPerEU: 10
; NamedBarCnt: 0
; Occupancy: 16
; WaveLimiterHint : 1
; COMPUTE_PGM_RSRC2:SCRATCH_EN: 0
; COMPUTE_PGM_RSRC2:USER_SGPR: 2
; COMPUTE_PGM_RSRC2:TRAP_HANDLER: 0
; COMPUTE_PGM_RSRC2:TGID_X_EN: 1
; COMPUTE_PGM_RSRC2:TGID_Y_EN: 1
; COMPUTE_PGM_RSRC2:TGID_Z_EN: 0
; COMPUTE_PGM_RSRC2:TIDIG_COMP_CNT: 1
	.section	.text._ZN9rocsolver6v33100L12restore_diagI19rocblas_complex_numIdEiS3_PKPS3_EEvPT1_llT2_lT0_lSA_,"axG",@progbits,_ZN9rocsolver6v33100L12restore_diagI19rocblas_complex_numIdEiS3_PKPS3_EEvPT1_llT2_lT0_lSA_,comdat
	.globl	_ZN9rocsolver6v33100L12restore_diagI19rocblas_complex_numIdEiS3_PKPS3_EEvPT1_llT2_lT0_lSA_ ; -- Begin function _ZN9rocsolver6v33100L12restore_diagI19rocblas_complex_numIdEiS3_PKPS3_EEvPT1_llT2_lT0_lSA_
	.p2align	8
	.type	_ZN9rocsolver6v33100L12restore_diagI19rocblas_complex_numIdEiS3_PKPS3_EEvPT1_llT2_lT0_lSA_,@function
_ZN9rocsolver6v33100L12restore_diagI19rocblas_complex_numIdEiS3_PKPS3_EEvPT1_llT2_lT0_lSA_: ; @_ZN9rocsolver6v33100L12restore_diagI19rocblas_complex_numIdEiS3_PKPS3_EEvPT1_llT2_lT0_lSA_
; %bb.0:
	s_clause 0x1
	s_load_u16 s3, s[0:1], 0x4e
	s_load_b32 s4, s[0:1], 0x38
	s_bfe_u32 s2, ttmp6, 0x40010
	s_bfe_u32 s5, ttmp6, 0x40004
	s_add_co_i32 s2, s2, 1
	v_bfe_u32 v0, v0, 10, 10
	s_mul_i32 s2, ttmp7, s2
	s_delay_alu instid0(SALU_CYCLE_1) | instskip(SKIP_1) | instid1(SALU_CYCLE_1)
	s_add_co_i32 s5, s5, s2
	s_getreg_b32 s2, hwreg(HW_REG_IB_STS2, 6, 4)
	s_cmp_eq_u32 s2, 0
	s_cselect_b32 s5, ttmp7, s5
	s_wait_kmcnt 0x0
	v_mad_u32 v0, s5, s3, v0
	s_mov_b32 s3, exec_lo
	s_delay_alu instid0(VALU_DEP_1)
	v_cmpx_gt_i32_e64 s4, v0
	s_cbranch_execz .LBB85_2
; %bb.1:
	s_load_b256 s[4:11], s[0:1], 0x0
	s_bfe_u32 s3, ttmp6, 0x4000c
	s_and_b32 s12, ttmp6, 15
	s_add_co_i32 s3, s3, 1
	s_delay_alu instid0(SALU_CYCLE_1) | instskip(NEXT) | instid1(SALU_CYCLE_1)
	s_mul_i32 s3, ttmp9, s3
	s_add_co_i32 s12, s12, s3
	s_cmp_eq_u32 s2, 0
	s_cselect_b32 s12, ttmp9, s12
	s_delay_alu instid0(SALU_CYCLE_1) | instskip(SKIP_2) | instid1(SALU_CYCLE_1)
	s_ashr_i32 s13, s12, 31
	s_wait_kmcnt 0x0
	s_mul_u64 s[2:3], s[8:9], s[12:13]
	s_lshl_b64 s[2:3], s[2:3], 4
	s_delay_alu instid0(SALU_CYCLE_1) | instskip(SKIP_1) | instid1(SALU_CYCLE_1)
	s_add_nc_u64 s[2:3], s[4:5], s[2:3]
	s_lshl_b64 s[4:5], s[6:7], 4
	s_add_nc_u64 s[2:3], s[2:3], s[4:5]
	s_lshl_b64 s[4:5], s[12:13], 3
	global_load_b128 v[2:5], v0, s[2:3] scale_offset
	s_wait_xcnt 0x0
	s_load_b96 s[0:2], s[0:1], 0x20
	s_add_nc_u64 s[4:5], s[10:11], s[4:5]
	s_load_b64 s[4:5], s[4:5], 0x0
	s_wait_kmcnt 0x0
	v_mad_u32 v0, v0, s2, v0
	s_lshl_b64 s[0:1], s[0:1], 4
	s_delay_alu instid0(SALU_CYCLE_1)
	s_add_nc_u64 s[0:1], s[4:5], s[0:1]
	s_wait_loadcnt 0x0
	flat_store_b128 v0, v[2:5], s[0:1] scale_offset
.LBB85_2:
	s_endpgm
	.section	.rodata,"a",@progbits
	.p2align	6, 0x0
	.amdhsa_kernel _ZN9rocsolver6v33100L12restore_diagI19rocblas_complex_numIdEiS3_PKPS3_EEvPT1_llT2_lT0_lSA_
		.amdhsa_group_segment_fixed_size 0
		.amdhsa_private_segment_fixed_size 0
		.amdhsa_kernarg_size 320
		.amdhsa_user_sgpr_count 2
		.amdhsa_user_sgpr_dispatch_ptr 0
		.amdhsa_user_sgpr_queue_ptr 0
		.amdhsa_user_sgpr_kernarg_segment_ptr 1
		.amdhsa_user_sgpr_dispatch_id 0
		.amdhsa_user_sgpr_kernarg_preload_length 0
		.amdhsa_user_sgpr_kernarg_preload_offset 0
		.amdhsa_user_sgpr_private_segment_size 0
		.amdhsa_wavefront_size32 1
		.amdhsa_uses_dynamic_stack 0
		.amdhsa_enable_private_segment 0
		.amdhsa_system_sgpr_workgroup_id_x 1
		.amdhsa_system_sgpr_workgroup_id_y 1
		.amdhsa_system_sgpr_workgroup_id_z 0
		.amdhsa_system_sgpr_workgroup_info 0
		.amdhsa_system_vgpr_workitem_id 1
		.amdhsa_next_free_vgpr 6
		.amdhsa_next_free_sgpr 14
		.amdhsa_named_barrier_count 0
		.amdhsa_reserve_vcc 0
		.amdhsa_float_round_mode_32 0
		.amdhsa_float_round_mode_16_64 0
		.amdhsa_float_denorm_mode_32 3
		.amdhsa_float_denorm_mode_16_64 3
		.amdhsa_fp16_overflow 0
		.amdhsa_memory_ordered 1
		.amdhsa_forward_progress 1
		.amdhsa_inst_pref_size 3
		.amdhsa_round_robin_scheduling 0
		.amdhsa_exception_fp_ieee_invalid_op 0
		.amdhsa_exception_fp_denorm_src 0
		.amdhsa_exception_fp_ieee_div_zero 0
		.amdhsa_exception_fp_ieee_overflow 0
		.amdhsa_exception_fp_ieee_underflow 0
		.amdhsa_exception_fp_ieee_inexact 0
		.amdhsa_exception_int_div_zero 0
	.end_amdhsa_kernel
	.section	.text._ZN9rocsolver6v33100L12restore_diagI19rocblas_complex_numIdEiS3_PKPS3_EEvPT1_llT2_lT0_lSA_,"axG",@progbits,_ZN9rocsolver6v33100L12restore_diagI19rocblas_complex_numIdEiS3_PKPS3_EEvPT1_llT2_lT0_lSA_,comdat
.Lfunc_end85:
	.size	_ZN9rocsolver6v33100L12restore_diagI19rocblas_complex_numIdEiS3_PKPS3_EEvPT1_llT2_lT0_lSA_, .Lfunc_end85-_ZN9rocsolver6v33100L12restore_diagI19rocblas_complex_numIdEiS3_PKPS3_EEvPT1_llT2_lT0_lSA_
                                        ; -- End function
	.set _ZN9rocsolver6v33100L12restore_diagI19rocblas_complex_numIdEiS3_PKPS3_EEvPT1_llT2_lT0_lSA_.num_vgpr, 6
	.set _ZN9rocsolver6v33100L12restore_diagI19rocblas_complex_numIdEiS3_PKPS3_EEvPT1_llT2_lT0_lSA_.num_agpr, 0
	.set _ZN9rocsolver6v33100L12restore_diagI19rocblas_complex_numIdEiS3_PKPS3_EEvPT1_llT2_lT0_lSA_.numbered_sgpr, 14
	.set _ZN9rocsolver6v33100L12restore_diagI19rocblas_complex_numIdEiS3_PKPS3_EEvPT1_llT2_lT0_lSA_.num_named_barrier, 0
	.set _ZN9rocsolver6v33100L12restore_diagI19rocblas_complex_numIdEiS3_PKPS3_EEvPT1_llT2_lT0_lSA_.private_seg_size, 0
	.set _ZN9rocsolver6v33100L12restore_diagI19rocblas_complex_numIdEiS3_PKPS3_EEvPT1_llT2_lT0_lSA_.uses_vcc, 0
	.set _ZN9rocsolver6v33100L12restore_diagI19rocblas_complex_numIdEiS3_PKPS3_EEvPT1_llT2_lT0_lSA_.uses_flat_scratch, 0
	.set _ZN9rocsolver6v33100L12restore_diagI19rocblas_complex_numIdEiS3_PKPS3_EEvPT1_llT2_lT0_lSA_.has_dyn_sized_stack, 0
	.set _ZN9rocsolver6v33100L12restore_diagI19rocblas_complex_numIdEiS3_PKPS3_EEvPT1_llT2_lT0_lSA_.has_recursion, 0
	.set _ZN9rocsolver6v33100L12restore_diagI19rocblas_complex_numIdEiS3_PKPS3_EEvPT1_llT2_lT0_lSA_.has_indirect_call, 0
	.section	.AMDGPU.csdata,"",@progbits
; Kernel info:
; codeLenInByte = 268
; TotalNumSgprs: 14
; NumVgprs: 6
; ScratchSize: 0
; MemoryBound: 0
; FloatMode: 240
; IeeeMode: 1
; LDSByteSize: 0 bytes/workgroup (compile time only)
; SGPRBlocks: 0
; VGPRBlocks: 0
; NumSGPRsForWavesPerEU: 14
; NumVGPRsForWavesPerEU: 6
; NamedBarCnt: 0
; Occupancy: 16
; WaveLimiterHint : 1
; COMPUTE_PGM_RSRC2:SCRATCH_EN: 0
; COMPUTE_PGM_RSRC2:USER_SGPR: 2
; COMPUTE_PGM_RSRC2:TRAP_HANDLER: 0
; COMPUTE_PGM_RSRC2:TGID_X_EN: 1
; COMPUTE_PGM_RSRC2:TGID_Y_EN: 1
; COMPUTE_PGM_RSRC2:TGID_Z_EN: 0
; COMPUTE_PGM_RSRC2:TIDIG_COMP_CNT: 1
	.section	.text._ZN9rocsolver6v33100L17check_singularityI19rocblas_complex_numIdEPKPS3_EEviT0_iilPi,"axG",@progbits,_ZN9rocsolver6v33100L17check_singularityI19rocblas_complex_numIdEPKPS3_EEviT0_iilPi,comdat
	.globl	_ZN9rocsolver6v33100L17check_singularityI19rocblas_complex_numIdEPKPS3_EEviT0_iilPi ; -- Begin function _ZN9rocsolver6v33100L17check_singularityI19rocblas_complex_numIdEPKPS3_EEviT0_iilPi
	.p2align	8
	.type	_ZN9rocsolver6v33100L17check_singularityI19rocblas_complex_numIdEPKPS3_EEviT0_iilPi,@function
_ZN9rocsolver6v33100L17check_singularityI19rocblas_complex_numIdEPKPS3_EEviT0_iilPi: ; @_ZN9rocsolver6v33100L17check_singularityI19rocblas_complex_numIdEPKPS3_EEviT0_iilPi
; %bb.0:
	s_bfe_u32 s2, ttmp6, 0x4000c
	v_bfe_u32 v0, v0, 10, 10
	s_add_co_i32 s2, s2, 1
	s_and_b32 s3, ttmp6, 15
	s_mul_i32 s2, ttmp9, s2
	s_getreg_b32 s4, hwreg(HW_REG_IB_STS2, 6, 4)
	s_add_co_i32 s3, s3, s2
	s_cmp_eq_u32 s4, 0
	v_cmp_eq_u32_e32 vcc_lo, 0, v0
	s_cselect_b32 s4, ttmp9, s3
	s_delay_alu instid0(SALU_CYCLE_1)
	s_ashr_i32 s5, s4, 31
	s_and_saveexec_b32 s2, vcc_lo
; %bb.1:
	v_mov_b32_e32 v1, 0
	ds_store_b32 v1, v1
; %bb.2:
	s_or_b32 exec_lo, exec_lo, s2
	s_load_b32 s8, s[0:1], 0x0
	s_mov_b32 s9, exec_lo
	s_wait_dscnt 0x0
	s_barrier_signal -1
	s_barrier_wait -1
	s_wait_kmcnt 0x0
	v_cmpx_gt_i32_e64 s8, v0
	s_cbranch_execz .LBB86_9
; %bb.3:
	s_clause 0x1
	s_load_b128 s[12:15], s[0:1], 0x8
	s_load_u16 s10, s[0:1], 0x36
	s_lshl_b64 s[2:3], s[4:5], 3
	v_mov_b32_e32 v1, 0
	s_wait_kmcnt 0x0
	s_add_nc_u64 s[2:3], s[12:13], s[2:3]
	s_ashr_i32 s7, s14, 31
	s_load_b64 s[2:3], s[2:3], 0x0
	s_mov_b32 s6, s14
	s_add_co_i32 s11, s15, 1
	s_lshl_b64 s[6:7], s[6:7], 4
	s_mov_b32 s12, 0
	s_wait_kmcnt 0x0
	s_add_nc_u64 s[6:7], s[2:3], s[6:7]
	s_branch .LBB86_5
.LBB86_4:                               ;   in Loop: Header=BB86_5 Depth=1
	s_or_b32 exec_lo, exec_lo, s13
	v_add_nc_u32_e32 v0, s10, v0
	s_delay_alu instid0(VALU_DEP_1) | instskip(SKIP_1) | instid1(SALU_CYCLE_1)
	v_cmp_le_i32_e64 s2, s8, v0
	s_or_b32 s12, s2, s12
	s_and_not1_b32 exec_lo, exec_lo, s12
	s_cbranch_execz .LBB86_9
.LBB86_5:                               ; =>This Loop Header: Depth=1
                                        ;     Child Loop BB86_8 Depth 2
	v_mul_lo_u32 v2, v0, s11
	flat_load_b128 v[2:5], v2, s[6:7] scale_offset
	s_wait_loadcnt_dscnt 0x0
	v_cmp_eq_f64_e64 s2, 0, v[2:3]
	v_cmp_eq_f64_e64 s3, 0, v[4:5]
	s_and_b32 s2, s2, s3
	s_delay_alu instid0(SALU_CYCLE_1)
	s_and_saveexec_b32 s13, s2
	s_cbranch_execz .LBB86_4
; %bb.6:                                ;   in Loop: Header=BB86_5 Depth=1
	ds_load_b32 v2, v1
	s_wait_dscnt 0x0
	v_readfirstlane_b32 s3, v2
	v_add_nc_u32_e32 v2, 1, v0
	s_cmp_eq_u32 s3, 0
	s_delay_alu instid0(VALU_DEP_1) | instskip(SKIP_1) | instid1(SALU_CYCLE_1)
	v_cmp_gt_i32_e64 s2, s3, v2
	s_cselect_b32 s14, -1, 0
	s_or_b32 s2, s14, s2
	s_delay_alu instid0(SALU_CYCLE_1)
	s_and_b32 exec_lo, exec_lo, s2
	s_cbranch_execz .LBB86_4
; %bb.7:                                ;   in Loop: Header=BB86_5 Depth=1
	v_mov_b32_e32 v3, s3
	s_mov_b32 s14, 0
.LBB86_8:                               ;   Parent Loop BB86_5 Depth=1
                                        ; =>  This Inner Loop Header: Depth=2
	ds_cmpstore_rtn_b32 v3, v1, v2, v3
	s_wait_dscnt 0x0
	v_cmp_ne_u32_e64 s2, 0, v3
	v_cmp_le_i32_e64 s3, v3, v2
	s_and_b32 s2, s2, s3
	s_delay_alu instid0(SALU_CYCLE_1) | instskip(NEXT) | instid1(SALU_CYCLE_1)
	s_and_b32 s2, exec_lo, s2
	s_or_b32 s14, s2, s14
	s_delay_alu instid0(SALU_CYCLE_1)
	s_and_not1_b32 exec_lo, exec_lo, s14
	s_cbranch_execnz .LBB86_8
	s_branch .LBB86_4
.LBB86_9:
	s_or_b32 exec_lo, exec_lo, s9
	s_barrier_signal -1
	s_barrier_wait -1
	s_and_saveexec_b32 s2, vcc_lo
	s_cbranch_execz .LBB86_11
; %bb.10:
	v_mov_b32_e32 v0, 0
	s_load_b64 s[0:1], s[0:1], 0x20
	s_lshl_b64 s[2:3], s[4:5], 2
	ds_load_b32 v1, v0
	s_wait_kmcnt 0x0
	s_add_nc_u64 s[0:1], s[0:1], s[2:3]
	s_wait_dscnt 0x0
	global_store_b32 v0, v1, s[0:1]
.LBB86_11:
	s_endpgm
	.section	.rodata,"a",@progbits
	.p2align	6, 0x0
	.amdhsa_kernel _ZN9rocsolver6v33100L17check_singularityI19rocblas_complex_numIdEPKPS3_EEviT0_iilPi
		.amdhsa_group_segment_fixed_size 4
		.amdhsa_private_segment_fixed_size 0
		.amdhsa_kernarg_size 296
		.amdhsa_user_sgpr_count 2
		.amdhsa_user_sgpr_dispatch_ptr 0
		.amdhsa_user_sgpr_queue_ptr 0
		.amdhsa_user_sgpr_kernarg_segment_ptr 1
		.amdhsa_user_sgpr_dispatch_id 0
		.amdhsa_user_sgpr_kernarg_preload_length 0
		.amdhsa_user_sgpr_kernarg_preload_offset 0
		.amdhsa_user_sgpr_private_segment_size 0
		.amdhsa_wavefront_size32 1
		.amdhsa_uses_dynamic_stack 0
		.amdhsa_enable_private_segment 0
		.amdhsa_system_sgpr_workgroup_id_x 1
		.amdhsa_system_sgpr_workgroup_id_y 0
		.amdhsa_system_sgpr_workgroup_id_z 0
		.amdhsa_system_sgpr_workgroup_info 0
		.amdhsa_system_vgpr_workitem_id 1
		.amdhsa_next_free_vgpr 6
		.amdhsa_next_free_sgpr 16
		.amdhsa_named_barrier_count 0
		.amdhsa_reserve_vcc 1
		.amdhsa_float_round_mode_32 0
		.amdhsa_float_round_mode_16_64 0
		.amdhsa_float_denorm_mode_32 3
		.amdhsa_float_denorm_mode_16_64 3
		.amdhsa_fp16_overflow 0
		.amdhsa_memory_ordered 1
		.amdhsa_forward_progress 1
		.amdhsa_inst_pref_size 4
		.amdhsa_round_robin_scheduling 0
		.amdhsa_exception_fp_ieee_invalid_op 0
		.amdhsa_exception_fp_denorm_src 0
		.amdhsa_exception_fp_ieee_div_zero 0
		.amdhsa_exception_fp_ieee_overflow 0
		.amdhsa_exception_fp_ieee_underflow 0
		.amdhsa_exception_fp_ieee_inexact 0
		.amdhsa_exception_int_div_zero 0
	.end_amdhsa_kernel
	.section	.text._ZN9rocsolver6v33100L17check_singularityI19rocblas_complex_numIdEPKPS3_EEviT0_iilPi,"axG",@progbits,_ZN9rocsolver6v33100L17check_singularityI19rocblas_complex_numIdEPKPS3_EEviT0_iilPi,comdat
.Lfunc_end86:
	.size	_ZN9rocsolver6v33100L17check_singularityI19rocblas_complex_numIdEPKPS3_EEviT0_iilPi, .Lfunc_end86-_ZN9rocsolver6v33100L17check_singularityI19rocblas_complex_numIdEPKPS3_EEviT0_iilPi
                                        ; -- End function
	.set _ZN9rocsolver6v33100L17check_singularityI19rocblas_complex_numIdEPKPS3_EEviT0_iilPi.num_vgpr, 6
	.set _ZN9rocsolver6v33100L17check_singularityI19rocblas_complex_numIdEPKPS3_EEviT0_iilPi.num_agpr, 0
	.set _ZN9rocsolver6v33100L17check_singularityI19rocblas_complex_numIdEPKPS3_EEviT0_iilPi.numbered_sgpr, 16
	.set _ZN9rocsolver6v33100L17check_singularityI19rocblas_complex_numIdEPKPS3_EEviT0_iilPi.num_named_barrier, 0
	.set _ZN9rocsolver6v33100L17check_singularityI19rocblas_complex_numIdEPKPS3_EEviT0_iilPi.private_seg_size, 0
	.set _ZN9rocsolver6v33100L17check_singularityI19rocblas_complex_numIdEPKPS3_EEviT0_iilPi.uses_vcc, 1
	.set _ZN9rocsolver6v33100L17check_singularityI19rocblas_complex_numIdEPKPS3_EEviT0_iilPi.uses_flat_scratch, 0
	.set _ZN9rocsolver6v33100L17check_singularityI19rocblas_complex_numIdEPKPS3_EEviT0_iilPi.has_dyn_sized_stack, 0
	.set _ZN9rocsolver6v33100L17check_singularityI19rocblas_complex_numIdEPKPS3_EEviT0_iilPi.has_recursion, 0
	.set _ZN9rocsolver6v33100L17check_singularityI19rocblas_complex_numIdEPKPS3_EEviT0_iilPi.has_indirect_call, 0
	.section	.AMDGPU.csdata,"",@progbits
; Kernel info:
; codeLenInByte = 476
; TotalNumSgprs: 18
; NumVgprs: 6
; ScratchSize: 0
; MemoryBound: 0
; FloatMode: 240
; IeeeMode: 1
; LDSByteSize: 4 bytes/workgroup (compile time only)
; SGPRBlocks: 0
; VGPRBlocks: 0
; NumSGPRsForWavesPerEU: 18
; NumVGPRsForWavesPerEU: 6
; NamedBarCnt: 0
; Occupancy: 16
; WaveLimiterHint : 1
; COMPUTE_PGM_RSRC2:SCRATCH_EN: 0
; COMPUTE_PGM_RSRC2:USER_SGPR: 2
; COMPUTE_PGM_RSRC2:TRAP_HANDLER: 0
; COMPUTE_PGM_RSRC2:TGID_X_EN: 1
; COMPUTE_PGM_RSRC2:TGID_Y_EN: 0
; COMPUTE_PGM_RSRC2:TGID_Z_EN: 0
; COMPUTE_PGM_RSRC2:TIDIG_COMP_CNT: 1
	.section	.text._ZN9rocsolver6v33100L8copy_matI19rocblas_complex_numIdEPKPS3_NS0_9info_maskEEEvNS0_17copymat_directionEiiT0_iilPT_T1_13rocblas_fill_17rocblas_diagonal_,"axG",@progbits,_ZN9rocsolver6v33100L8copy_matI19rocblas_complex_numIdEPKPS3_NS0_9info_maskEEEvNS0_17copymat_directionEiiT0_iilPT_T1_13rocblas_fill_17rocblas_diagonal_,comdat
	.globl	_ZN9rocsolver6v33100L8copy_matI19rocblas_complex_numIdEPKPS3_NS0_9info_maskEEEvNS0_17copymat_directionEiiT0_iilPT_T1_13rocblas_fill_17rocblas_diagonal_ ; -- Begin function _ZN9rocsolver6v33100L8copy_matI19rocblas_complex_numIdEPKPS3_NS0_9info_maskEEEvNS0_17copymat_directionEiiT0_iilPT_T1_13rocblas_fill_17rocblas_diagonal_
	.p2align	8
	.type	_ZN9rocsolver6v33100L8copy_matI19rocblas_complex_numIdEPKPS3_NS0_9info_maskEEEvNS0_17copymat_directionEiiT0_iilPT_T1_13rocblas_fill_17rocblas_diagonal_,@function
_ZN9rocsolver6v33100L8copy_matI19rocblas_complex_numIdEPKPS3_NS0_9info_maskEEEvNS0_17copymat_directionEiiT0_iilPT_T1_13rocblas_fill_17rocblas_diagonal_: ; @_ZN9rocsolver6v33100L8copy_matI19rocblas_complex_numIdEPKPS3_NS0_9info_maskEEEvNS0_17copymat_directionEiiT0_iilPT_T1_13rocblas_fill_17rocblas_diagonal_
; %bb.0:
	s_clause 0x2
	s_load_b32 s2, s[0:1], 0x38
	s_load_b32 s3, s[0:1], 0x54
	s_load_b128 s[4:7], s[0:1], 0x28
	s_bfe_u32 s9, ttmp6, 0x4000c
	s_bfe_u32 s10, ttmp6, 0x40010
	;; [unrolled: 1-line block ×3, first 2 shown]
	s_add_co_i32 s9, s9, 1
	s_and_b32 s8, ttmp6, 15
	s_and_b32 s11, ttmp7, 0xffff
	s_lshr_b32 s13, ttmp7, 16
	s_add_co_i32 s10, s10, 1
	s_add_co_i32 s14, s14, 1
	s_mul_i32 s9, ttmp9, s9
	s_bfe_u32 s12, ttmp6, 0x40004
	s_mul_i32 s10, s11, s10
	s_mul_i32 s14, s13, s14
	s_add_co_i32 s15, s8, s9
	s_bfe_u32 s8, ttmp6, 0x40008
	s_getreg_b32 s9, hwreg(HW_REG_IB_STS2, 6, 4)
	s_add_co_i32 s16, s12, s10
	s_wait_kmcnt 0x0
	s_and_b32 s17, s2, 0xff
	s_lshr_b32 s2, s3, 16
	s_and_b32 s3, s3, 0xffff
	s_add_co_i32 s8, s8, s14
	s_cmp_eq_u32 s9, 0
	v_bfe_u32 v1, v0, 10, 10
	s_cselect_b32 s12, s13, s8
	s_load_b32 s13, s[6:7], s12 offset:0x0 scale_offset
	s_load_b96 s[8:10], s[0:1], 0x0
	v_and_b32_e32 v2, 0x3ff, v0
	s_wait_xcnt 0x0
	s_cselect_b32 s6, s11, s16
	s_cselect_b32 s7, ttmp9, s15
	v_mad_u32 v0, s6, s2, v1
	v_mad_u32 v1, s7, s3, v2
	s_wait_kmcnt 0x0
	s_cmp_lg_u32 s13, 0
	s_delay_alu instid0(VALU_DEP_1) | instskip(SKIP_1) | instid1(SALU_CYCLE_1)
	v_cmp_gt_u32_e32 vcc_lo, s9, v1
	s_cselect_b32 s2, -1, 0
	v_cndmask_b32_e64 v2, 0, 1, s2
	s_delay_alu instid0(VALU_DEP_4) | instskip(NEXT) | instid1(VALU_DEP_2)
	v_cmp_gt_u32_e64 s2, s10, v0
	v_readfirstlane_b32 s3, v2
	s_cmp_lg_u32 s17, s3
	s_cselect_b32 s3, -1, 0
	s_and_b32 s2, s2, vcc_lo
	s_delay_alu instid0(SALU_CYCLE_1) | instskip(NEXT) | instid1(SALU_CYCLE_1)
	s_and_b32 s2, s2, s3
	s_and_saveexec_b32 s3, s2
	s_cbranch_execz .LBB87_16
; %bb.1:
	s_load_b64 s[6:7], s[0:1], 0x40
	s_wait_kmcnt 0x0
	s_cmp_lt_i32 s6, 0x7a
	s_cbranch_scc1 .LBB87_4
; %bb.2:
	s_cmp_gt_i32 s6, 0x7a
	s_cbranch_scc0 .LBB87_5
; %bb.3:
	s_cmp_lg_u32 s6, 0x7b
	s_mov_b32 s3, -1
	s_cselect_b32 s11, -1, 0
	s_cbranch_execz .LBB87_6
	s_branch .LBB87_7
.LBB87_4:
	s_mov_b32 s11, 0
	s_mov_b32 s3, 0
	s_cbranch_execnz .LBB87_8
	s_branch .LBB87_10
.LBB87_5:
	s_mov_b32 s3, 0
	s_mov_b32 s11, 0
.LBB87_6:
	v_cmp_gt_u32_e32 vcc_lo, v1, v0
	v_cmp_le_u32_e64 s2, v1, v0
	s_and_not1_b32 s3, s3, exec_lo
	s_and_not1_b32 s11, s11, exec_lo
	s_and_b32 s13, vcc_lo, exec_lo
	s_and_b32 s2, s2, exec_lo
	s_or_b32 s3, s3, s13
	s_or_b32 s11, s11, s2
.LBB87_7:
	s_branch .LBB87_10
.LBB87_8:
	s_cmp_eq_u32 s6, 0x79
	s_mov_b32 s11, -1
	s_cbranch_scc0 .LBB87_10
; %bb.9:
	v_cmp_gt_u32_e32 vcc_lo, v0, v1
	v_cmp_le_u32_e64 s2, v0, v1
	s_and_not1_b32 s3, s3, exec_lo
	s_and_b32 s6, vcc_lo, exec_lo
	s_or_not1_b32 s11, s2, exec_lo
	s_or_b32 s3, s3, s6
.LBB87_10:
	s_and_saveexec_b32 s2, s11
; %bb.11:
	v_cmp_eq_u32_e32 vcc_lo, v1, v0
	s_cmp_eq_u32 s7, 0x83
	s_cselect_b32 s6, -1, 0
	s_and_not1_b32 s3, s3, exec_lo
	s_and_b32 s6, s6, vcc_lo
	s_delay_alu instid0(SALU_CYCLE_1) | instskip(NEXT) | instid1(SALU_CYCLE_1)
	s_and_b32 s6, s6, exec_lo
	s_or_b32 s3, s3, s6
; %bb.12:
	s_or_b32 exec_lo, exec_lo, s2
	s_delay_alu instid0(SALU_CYCLE_1)
	s_and_b32 exec_lo, exec_lo, s3
	s_cbranch_execz .LBB87_16
; %bb.13:
	s_load_b128 s[0:3], s[0:1], 0x10
	s_mov_b32 s6, s9
	s_ashr_i32 s7, s9, 31
	v_mad_u32 v2, v0, s6, v1
	s_mov_b32 s13, 0
	s_ashr_i32 s11, s10, 31
	s_mul_u64 s[6:7], s[6:7], s[12:13]
	s_delay_alu instid0(SALU_CYCLE_1) | instskip(NEXT) | instid1(SALU_CYCLE_1)
	s_mul_u64 s[6:7], s[6:7], s[10:11]
	s_lshl_b64 s[6:7], s[6:7], 4
	s_wait_kmcnt 0x0
	s_load_b64 s[0:1], s[0:1], s12 offset:0x0 scale_offset
	v_mad_u32 v0, v0, s3, v1
	s_ashr_i32 s3, s2, 31
	s_delay_alu instid0(SALU_CYCLE_1)
	s_lshl_b64 s[2:3], s[2:3], 4
	s_cmp_lg_u32 s8, 0
	s_wait_kmcnt 0x0
	s_add_nc_u64 s[0:1], s[0:1], s[2:3]
	s_add_nc_u64 s[2:3], s[4:5], s[6:7]
	s_cbranch_scc0 .LBB87_17
; %bb.14:
	global_load_b128 v[4:7], v2, s[2:3] scale_offset
	s_wait_loadcnt 0x0
	flat_store_b128 v0, v[4:7], s[0:1] scale_offset
	s_and_not1_b32 vcc_lo, exec_lo, s13
	s_cbranch_vccnz .LBB87_16
.LBB87_15:
	flat_load_b128 v[4:7], v0, s[0:1] scale_offset
	s_wait_loadcnt_dscnt 0x0
	global_store_b128 v2, v[4:7], s[2:3] scale_offset
.LBB87_16:
	s_endpgm
.LBB87_17:
	s_branch .LBB87_15
	.section	.rodata,"a",@progbits
	.p2align	6, 0x0
	.amdhsa_kernel _ZN9rocsolver6v33100L8copy_matI19rocblas_complex_numIdEPKPS3_NS0_9info_maskEEEvNS0_17copymat_directionEiiT0_iilPT_T1_13rocblas_fill_17rocblas_diagonal_
		.amdhsa_group_segment_fixed_size 0
		.amdhsa_private_segment_fixed_size 0
		.amdhsa_kernarg_size 328
		.amdhsa_user_sgpr_count 2
		.amdhsa_user_sgpr_dispatch_ptr 0
		.amdhsa_user_sgpr_queue_ptr 0
		.amdhsa_user_sgpr_kernarg_segment_ptr 1
		.amdhsa_user_sgpr_dispatch_id 0
		.amdhsa_user_sgpr_kernarg_preload_length 0
		.amdhsa_user_sgpr_kernarg_preload_offset 0
		.amdhsa_user_sgpr_private_segment_size 0
		.amdhsa_wavefront_size32 1
		.amdhsa_uses_dynamic_stack 0
		.amdhsa_enable_private_segment 0
		.amdhsa_system_sgpr_workgroup_id_x 1
		.amdhsa_system_sgpr_workgroup_id_y 1
		.amdhsa_system_sgpr_workgroup_id_z 1
		.amdhsa_system_sgpr_workgroup_info 0
		.amdhsa_system_vgpr_workitem_id 1
		.amdhsa_next_free_vgpr 8
		.amdhsa_next_free_sgpr 18
		.amdhsa_named_barrier_count 0
		.amdhsa_reserve_vcc 1
		.amdhsa_float_round_mode_32 0
		.amdhsa_float_round_mode_16_64 0
		.amdhsa_float_denorm_mode_32 3
		.amdhsa_float_denorm_mode_16_64 3
		.amdhsa_fp16_overflow 0
		.amdhsa_memory_ordered 1
		.amdhsa_forward_progress 1
		.amdhsa_inst_pref_size 6
		.amdhsa_round_robin_scheduling 0
		.amdhsa_exception_fp_ieee_invalid_op 0
		.amdhsa_exception_fp_denorm_src 0
		.amdhsa_exception_fp_ieee_div_zero 0
		.amdhsa_exception_fp_ieee_overflow 0
		.amdhsa_exception_fp_ieee_underflow 0
		.amdhsa_exception_fp_ieee_inexact 0
		.amdhsa_exception_int_div_zero 0
	.end_amdhsa_kernel
	.section	.text._ZN9rocsolver6v33100L8copy_matI19rocblas_complex_numIdEPKPS3_NS0_9info_maskEEEvNS0_17copymat_directionEiiT0_iilPT_T1_13rocblas_fill_17rocblas_diagonal_,"axG",@progbits,_ZN9rocsolver6v33100L8copy_matI19rocblas_complex_numIdEPKPS3_NS0_9info_maskEEEvNS0_17copymat_directionEiiT0_iilPT_T1_13rocblas_fill_17rocblas_diagonal_,comdat
.Lfunc_end87:
	.size	_ZN9rocsolver6v33100L8copy_matI19rocblas_complex_numIdEPKPS3_NS0_9info_maskEEEvNS0_17copymat_directionEiiT0_iilPT_T1_13rocblas_fill_17rocblas_diagonal_, .Lfunc_end87-_ZN9rocsolver6v33100L8copy_matI19rocblas_complex_numIdEPKPS3_NS0_9info_maskEEEvNS0_17copymat_directionEiiT0_iilPT_T1_13rocblas_fill_17rocblas_diagonal_
                                        ; -- End function
	.set _ZN9rocsolver6v33100L8copy_matI19rocblas_complex_numIdEPKPS3_NS0_9info_maskEEEvNS0_17copymat_directionEiiT0_iilPT_T1_13rocblas_fill_17rocblas_diagonal_.num_vgpr, 8
	.set _ZN9rocsolver6v33100L8copy_matI19rocblas_complex_numIdEPKPS3_NS0_9info_maskEEEvNS0_17copymat_directionEiiT0_iilPT_T1_13rocblas_fill_17rocblas_diagonal_.num_agpr, 0
	.set _ZN9rocsolver6v33100L8copy_matI19rocblas_complex_numIdEPKPS3_NS0_9info_maskEEEvNS0_17copymat_directionEiiT0_iilPT_T1_13rocblas_fill_17rocblas_diagonal_.numbered_sgpr, 18
	.set _ZN9rocsolver6v33100L8copy_matI19rocblas_complex_numIdEPKPS3_NS0_9info_maskEEEvNS0_17copymat_directionEiiT0_iilPT_T1_13rocblas_fill_17rocblas_diagonal_.num_named_barrier, 0
	.set _ZN9rocsolver6v33100L8copy_matI19rocblas_complex_numIdEPKPS3_NS0_9info_maskEEEvNS0_17copymat_directionEiiT0_iilPT_T1_13rocblas_fill_17rocblas_diagonal_.private_seg_size, 0
	.set _ZN9rocsolver6v33100L8copy_matI19rocblas_complex_numIdEPKPS3_NS0_9info_maskEEEvNS0_17copymat_directionEiiT0_iilPT_T1_13rocblas_fill_17rocblas_diagonal_.uses_vcc, 1
	.set _ZN9rocsolver6v33100L8copy_matI19rocblas_complex_numIdEPKPS3_NS0_9info_maskEEEvNS0_17copymat_directionEiiT0_iilPT_T1_13rocblas_fill_17rocblas_diagonal_.uses_flat_scratch, 0
	.set _ZN9rocsolver6v33100L8copy_matI19rocblas_complex_numIdEPKPS3_NS0_9info_maskEEEvNS0_17copymat_directionEiiT0_iilPT_T1_13rocblas_fill_17rocblas_diagonal_.has_dyn_sized_stack, 0
	.set _ZN9rocsolver6v33100L8copy_matI19rocblas_complex_numIdEPKPS3_NS0_9info_maskEEEvNS0_17copymat_directionEiiT0_iilPT_T1_13rocblas_fill_17rocblas_diagonal_.has_recursion, 0
	.set _ZN9rocsolver6v33100L8copy_matI19rocblas_complex_numIdEPKPS3_NS0_9info_maskEEEvNS0_17copymat_directionEiiT0_iilPT_T1_13rocblas_fill_17rocblas_diagonal_.has_indirect_call, 0
	.section	.AMDGPU.csdata,"",@progbits
; Kernel info:
; codeLenInByte = 684
; TotalNumSgprs: 20
; NumVgprs: 8
; ScratchSize: 0
; MemoryBound: 0
; FloatMode: 240
; IeeeMode: 1
; LDSByteSize: 0 bytes/workgroup (compile time only)
; SGPRBlocks: 0
; VGPRBlocks: 0
; NumSGPRsForWavesPerEU: 20
; NumVGPRsForWavesPerEU: 8
; NamedBarCnt: 0
; Occupancy: 16
; WaveLimiterHint : 1
; COMPUTE_PGM_RSRC2:SCRATCH_EN: 0
; COMPUTE_PGM_RSRC2:USER_SGPR: 2
; COMPUTE_PGM_RSRC2:TRAP_HANDLER: 0
; COMPUTE_PGM_RSRC2:TGID_X_EN: 1
; COMPUTE_PGM_RSRC2:TGID_Y_EN: 1
; COMPUTE_PGM_RSRC2:TGID_Z_EN: 1
; COMPUTE_PGM_RSRC2:TIDIG_COMP_CNT: 1
	.section	.text._ZN9rocsolver6v33100L13gels_set_zeroI19rocblas_complex_numIdEPKPS3_EEviiiT0_iilPKi,"axG",@progbits,_ZN9rocsolver6v33100L13gels_set_zeroI19rocblas_complex_numIdEPKPS3_EEviiiT0_iilPKi,comdat
	.globl	_ZN9rocsolver6v33100L13gels_set_zeroI19rocblas_complex_numIdEPKPS3_EEviiiT0_iilPKi ; -- Begin function _ZN9rocsolver6v33100L13gels_set_zeroI19rocblas_complex_numIdEPKPS3_EEviiiT0_iilPKi
	.p2align	8
	.type	_ZN9rocsolver6v33100L13gels_set_zeroI19rocblas_complex_numIdEPKPS3_EEviiiT0_iilPKi,@function
_ZN9rocsolver6v33100L13gels_set_zeroI19rocblas_complex_numIdEPKPS3_EEviiiT0_iilPKi: ; @_ZN9rocsolver6v33100L13gels_set_zeroI19rocblas_complex_numIdEPKPS3_EEviiiT0_iilPKi
; %bb.0:
	s_clause 0x1
	s_load_b32 s2, s[0:1], 0x3c
	s_load_b96 s[4:6], s[0:1], 0x0
	s_bfe_u32 s8, ttmp6, 0x4000c
	s_bfe_u32 s10, ttmp6, 0x40010
	s_and_b32 s9, ttmp7, 0xffff
	s_add_co_i32 s8, s8, 1
	s_add_co_i32 s10, s10, 1
	s_and_b32 s7, ttmp6, 15
	s_bfe_u32 s11, ttmp6, 0x40004
	s_mul_i32 s8, ttmp9, s8
	s_mul_i32 s10, s9, s10
	s_getreg_b32 s3, hwreg(HW_REG_IB_STS2, 6, 4)
	v_bfe_u32 v2, v0, 10, 10
	v_and_b32_e32 v0, 0x3ff, v0
	s_add_co_i32 s7, s7, s8
	s_add_co_i32 s11, s11, s10
	s_wait_kmcnt 0x0
	s_lshr_b32 s8, s2, 16
	s_and_b32 s2, s2, 0xffff
	s_cmp_eq_u32 s3, 0
	s_cselect_b32 s7, ttmp9, s7
	s_cselect_b32 s9, s9, s11
	v_mad_u32 v1, s7, s2, v0
	v_mad_u32 v0, s9, s8, v2
	s_sub_co_i32 s2, s5, s4
	s_delay_alu instid0(VALU_DEP_2) | instid1(SALU_CYCLE_1)
	v_cmp_gt_u32_e32 vcc_lo, s2, v1
	s_delay_alu instid0(VALU_DEP_2) | instskip(SKIP_1) | instid1(SALU_CYCLE_1)
	v_cmp_gt_u32_e64 s2, s6, v0
	s_and_b32 s2, s2, vcc_lo
	s_and_saveexec_b32 s5, s2
	s_cbranch_execz .LBB88_2
; %bb.1:
	s_load_b64 s[6:7], s[0:1], 0x28
	s_bfe_u32 s2, ttmp6, 0x40014
	s_lshr_b32 s5, ttmp7, 16
	s_add_co_i32 s2, s2, 1
	s_bfe_u32 s8, ttmp6, 0x40008
	s_mul_i32 s2, s5, s2
	s_delay_alu instid0(SALU_CYCLE_1)
	s_add_co_i32 s8, s8, s2
	s_cmp_eq_u32 s3, 0
	s_cselect_b32 s2, s5, s8
	s_wait_kmcnt 0x0
	s_load_b32 s3, s[6:7], s2 offset:0x0 scale_offset
	s_wait_kmcnt 0x0
	s_cmp_lg_u32 s3, 0
	s_cbranch_scc0 .LBB88_3
.LBB88_2:
	s_endpgm
.LBB88_3:
	s_load_b128 s[8:11], s[0:1], 0x10
	v_dual_mov_b32 v2, 0 :: v_dual_add_nc_u32 v1, s4, v1
	s_delay_alu instid0(VALU_DEP_1)
	v_dual_mov_b32 v3, v2 :: v_dual_mov_b32 v4, v2
	v_mov_b32_e32 v5, v2
	s_wait_kmcnt 0x0
	s_load_b64 s[0:1], s[8:9], s2 offset:0x0 scale_offset
	v_mad_u32 v0, v0, s11, v1
	s_ashr_i32 s3, s10, 31
	s_wait_xcnt 0x0
	s_mov_b32 s2, s10
	s_delay_alu instid0(SALU_CYCLE_1)
	s_lshl_b64 s[2:3], s[2:3], 4
	s_wait_kmcnt 0x0
	s_add_nc_u64 s[0:1], s[0:1], s[2:3]
	flat_store_b128 v0, v[2:5], s[0:1] scale_offset
	s_endpgm
	.section	.rodata,"a",@progbits
	.p2align	6, 0x0
	.amdhsa_kernel _ZN9rocsolver6v33100L13gels_set_zeroI19rocblas_complex_numIdEPKPS3_EEviiiT0_iilPKi
		.amdhsa_group_segment_fixed_size 0
		.amdhsa_private_segment_fixed_size 0
		.amdhsa_kernarg_size 304
		.amdhsa_user_sgpr_count 2
		.amdhsa_user_sgpr_dispatch_ptr 0
		.amdhsa_user_sgpr_queue_ptr 0
		.amdhsa_user_sgpr_kernarg_segment_ptr 1
		.amdhsa_user_sgpr_dispatch_id 0
		.amdhsa_user_sgpr_kernarg_preload_length 0
		.amdhsa_user_sgpr_kernarg_preload_offset 0
		.amdhsa_user_sgpr_private_segment_size 0
		.amdhsa_wavefront_size32 1
		.amdhsa_uses_dynamic_stack 0
		.amdhsa_enable_private_segment 0
		.amdhsa_system_sgpr_workgroup_id_x 1
		.amdhsa_system_sgpr_workgroup_id_y 1
		.amdhsa_system_sgpr_workgroup_id_z 1
		.amdhsa_system_sgpr_workgroup_info 0
		.amdhsa_system_vgpr_workitem_id 1
		.amdhsa_next_free_vgpr 6
		.amdhsa_next_free_sgpr 12
		.amdhsa_named_barrier_count 0
		.amdhsa_reserve_vcc 1
		.amdhsa_float_round_mode_32 0
		.amdhsa_float_round_mode_16_64 0
		.amdhsa_float_denorm_mode_32 3
		.amdhsa_float_denorm_mode_16_64 3
		.amdhsa_fp16_overflow 0
		.amdhsa_memory_ordered 1
		.amdhsa_forward_progress 1
		.amdhsa_inst_pref_size 3
		.amdhsa_round_robin_scheduling 0
		.amdhsa_exception_fp_ieee_invalid_op 0
		.amdhsa_exception_fp_denorm_src 0
		.amdhsa_exception_fp_ieee_div_zero 0
		.amdhsa_exception_fp_ieee_overflow 0
		.amdhsa_exception_fp_ieee_underflow 0
		.amdhsa_exception_fp_ieee_inexact 0
		.amdhsa_exception_int_div_zero 0
	.end_amdhsa_kernel
	.section	.text._ZN9rocsolver6v33100L13gels_set_zeroI19rocblas_complex_numIdEPKPS3_EEviiiT0_iilPKi,"axG",@progbits,_ZN9rocsolver6v33100L13gels_set_zeroI19rocblas_complex_numIdEPKPS3_EEviiiT0_iilPKi,comdat
.Lfunc_end88:
	.size	_ZN9rocsolver6v33100L13gels_set_zeroI19rocblas_complex_numIdEPKPS3_EEviiiT0_iilPKi, .Lfunc_end88-_ZN9rocsolver6v33100L13gels_set_zeroI19rocblas_complex_numIdEPKPS3_EEviiiT0_iilPKi
                                        ; -- End function
	.set _ZN9rocsolver6v33100L13gels_set_zeroI19rocblas_complex_numIdEPKPS3_EEviiiT0_iilPKi.num_vgpr, 6
	.set _ZN9rocsolver6v33100L13gels_set_zeroI19rocblas_complex_numIdEPKPS3_EEviiiT0_iilPKi.num_agpr, 0
	.set _ZN9rocsolver6v33100L13gels_set_zeroI19rocblas_complex_numIdEPKPS3_EEviiiT0_iilPKi.numbered_sgpr, 12
	.set _ZN9rocsolver6v33100L13gels_set_zeroI19rocblas_complex_numIdEPKPS3_EEviiiT0_iilPKi.num_named_barrier, 0
	.set _ZN9rocsolver6v33100L13gels_set_zeroI19rocblas_complex_numIdEPKPS3_EEviiiT0_iilPKi.private_seg_size, 0
	.set _ZN9rocsolver6v33100L13gels_set_zeroI19rocblas_complex_numIdEPKPS3_EEviiiT0_iilPKi.uses_vcc, 1
	.set _ZN9rocsolver6v33100L13gels_set_zeroI19rocblas_complex_numIdEPKPS3_EEviiiT0_iilPKi.uses_flat_scratch, 0
	.set _ZN9rocsolver6v33100L13gels_set_zeroI19rocblas_complex_numIdEPKPS3_EEviiiT0_iilPKi.has_dyn_sized_stack, 0
	.set _ZN9rocsolver6v33100L13gels_set_zeroI19rocblas_complex_numIdEPKPS3_EEviiiT0_iilPKi.has_recursion, 0
	.set _ZN9rocsolver6v33100L13gels_set_zeroI19rocblas_complex_numIdEPKPS3_EEviiiT0_iilPKi.has_indirect_call, 0
	.section	.AMDGPU.csdata,"",@progbits
; Kernel info:
; codeLenInByte = 356
; TotalNumSgprs: 14
; NumVgprs: 6
; ScratchSize: 0
; MemoryBound: 0
; FloatMode: 240
; IeeeMode: 1
; LDSByteSize: 0 bytes/workgroup (compile time only)
; SGPRBlocks: 0
; VGPRBlocks: 0
; NumSGPRsForWavesPerEU: 14
; NumVGPRsForWavesPerEU: 6
; NamedBarCnt: 0
; Occupancy: 16
; WaveLimiterHint : 1
; COMPUTE_PGM_RSRC2:SCRATCH_EN: 0
; COMPUTE_PGM_RSRC2:USER_SGPR: 2
; COMPUTE_PGM_RSRC2:TRAP_HANDLER: 0
; COMPUTE_PGM_RSRC2:TGID_X_EN: 1
; COMPUTE_PGM_RSRC2:TGID_Y_EN: 1
; COMPUTE_PGM_RSRC2:TGID_Z_EN: 1
; COMPUTE_PGM_RSRC2:TIDIG_COMP_CNT: 1
	.section	.AMDGPU.gpr_maximums,"",@progbits
	.set amdgpu.max_num_vgpr, 0
	.set amdgpu.max_num_agpr, 0
	.set amdgpu.max_num_sgpr, 0
	.section	.AMDGPU.csdata,"",@progbits
	.type	__hip_cuid_bbb92b71850993be,@object ; @__hip_cuid_bbb92b71850993be
	.section	.bss,"aw",@nobits
	.globl	__hip_cuid_bbb92b71850993be
__hip_cuid_bbb92b71850993be:
	.byte	0                               ; 0x0
	.size	__hip_cuid_bbb92b71850993be, 1

	.ident	"AMD clang version 22.0.0git (https://github.com/RadeonOpenCompute/llvm-project roc-7.2.4 26084 f58b06dce1f9c15707c5f808fd002e18c2accf7e)"
	.section	".note.GNU-stack","",@progbits
	.addrsig
	.addrsig_sym __hip_cuid_bbb92b71850993be
	.amdgpu_metadata
---
amdhsa.kernels:
  - .args:
      - .address_space:  global
        .offset:         0
        .size:           8
        .value_kind:     global_buffer
      - .offset:         8
        .size:           4
        .value_kind:     by_value
      - .offset:         12
        .size:           4
        .value_kind:     by_value
    .group_segment_fixed_size: 0
    .kernarg_segment_align: 8
    .kernarg_segment_size: 16
    .language:       OpenCL C
    .language_version:
      - 2
      - 0
    .max_flat_workgroup_size: 32
    .name:           _ZN9rocsolver6v33100L6iota_nIfEEvPT_jS2_
    .private_segment_fixed_size: 0
    .sgpr_count:     6
    .sgpr_spill_count: 0
    .symbol:         _ZN9rocsolver6v33100L6iota_nIfEEvPT_jS2_.kd
    .uniform_work_group_size: 1
    .uses_dynamic_stack: false
    .vgpr_count:     2
    .vgpr_spill_count: 0
    .wavefront_size: 32
  - .args:
      - .address_space:  global
        .offset:         0
        .size:           8
        .value_kind:     global_buffer
      - .offset:         8
        .size:           4
        .value_kind:     by_value
      - .offset:         12
        .size:           4
        .value_kind:     by_value
      - .offset:         16
        .size:           4
        .value_kind:     by_value
      - .offset:         24
        .size:           4
        .value_kind:     hidden_block_count_x
      - .offset:         28
        .size:           4
        .value_kind:     hidden_block_count_y
      - .offset:         32
        .size:           4
        .value_kind:     hidden_block_count_z
      - .offset:         36
        .size:           2
        .value_kind:     hidden_group_size_x
      - .offset:         38
        .size:           2
        .value_kind:     hidden_group_size_y
      - .offset:         40
        .size:           2
        .value_kind:     hidden_group_size_z
      - .offset:         42
        .size:           2
        .value_kind:     hidden_remainder_x
      - .offset:         44
        .size:           2
        .value_kind:     hidden_remainder_y
      - .offset:         46
        .size:           2
        .value_kind:     hidden_remainder_z
      - .offset:         64
        .size:           8
        .value_kind:     hidden_global_offset_x
      - .offset:         72
        .size:           8
        .value_kind:     hidden_global_offset_y
      - .offset:         80
        .size:           8
        .value_kind:     hidden_global_offset_z
      - .offset:         88
        .size:           2
        .value_kind:     hidden_grid_dims
    .group_segment_fixed_size: 0
    .kernarg_segment_align: 8
    .kernarg_segment_size: 280
    .language:       OpenCL C
    .language_version:
      - 2
      - 0
    .max_flat_workgroup_size: 1024
    .name:           _ZN9rocsolver6v33100L10reset_infoIiiiEEvPT_T0_T1_S4_
    .private_segment_fixed_size: 0
    .sgpr_count:     9
    .sgpr_spill_count: 0
    .symbol:         _ZN9rocsolver6v33100L10reset_infoIiiiEEvPT_T0_T1_S4_.kd
    .uniform_work_group_size: 1
    .uses_dynamic_stack: false
    .vgpr_count:     2
    .vgpr_spill_count: 0
    .wavefront_size: 32
  - .args:
      - .offset:         0
        .size:           4
        .value_kind:     by_value
      - .offset:         4
        .size:           4
        .value_kind:     by_value
      - .address_space:  global
        .offset:         8
        .size:           8
        .value_kind:     global_buffer
      - .offset:         16
        .size:           4
        .value_kind:     by_value
      - .offset:         20
        .size:           4
        .value_kind:     by_value
      - .offset:         24
        .size:           8
        .value_kind:     by_value
      - .offset:         32
        .size:           4
        .value_kind:     by_value
      - .offset:         40
        .size:           4
        .value_kind:     hidden_block_count_x
      - .offset:         44
        .size:           4
        .value_kind:     hidden_block_count_y
      - .offset:         48
        .size:           4
        .value_kind:     hidden_block_count_z
      - .offset:         52
        .size:           2
        .value_kind:     hidden_group_size_x
      - .offset:         54
        .size:           2
        .value_kind:     hidden_group_size_y
      - .offset:         56
        .size:           2
        .value_kind:     hidden_group_size_z
      - .offset:         58
        .size:           2
        .value_kind:     hidden_remainder_x
      - .offset:         60
        .size:           2
        .value_kind:     hidden_remainder_y
      - .offset:         62
        .size:           2
        .value_kind:     hidden_remainder_z
      - .offset:         80
        .size:           8
        .value_kind:     hidden_global_offset_x
      - .offset:         88
        .size:           8
        .value_kind:     hidden_global_offset_y
      - .offset:         96
        .size:           8
        .value_kind:     hidden_global_offset_z
      - .offset:         104
        .size:           2
        .value_kind:     hidden_grid_dims
    .group_segment_fixed_size: 0
    .kernarg_segment_align: 8
    .kernarg_segment_size: 296
    .language:       OpenCL C
    .language_version:
      - 2
      - 0
    .max_flat_workgroup_size: 1024
    .name:           _ZN9rocsolver6v33100L8set_zeroIfPKPfEEviiT0_iil13rocblas_fill_
    .private_segment_fixed_size: 0
    .sgpr_count:     13
    .sgpr_spill_count: 0
    .symbol:         _ZN9rocsolver6v33100L8set_zeroIfPKPfEEviiT0_iil13rocblas_fill_.kd
    .uniform_work_group_size: 1
    .uses_dynamic_stack: false
    .vgpr_count:     3
    .vgpr_spill_count: 0
    .wavefront_size: 32
  - .args:
      - .offset:         0
        .size:           4
        .value_kind:     by_value
      - .offset:         4
        .size:           4
        .value_kind:     by_value
      - .address_space:  global
        .offset:         8
        .size:           8
        .value_kind:     global_buffer
      - .offset:         16
        .size:           8
        .value_kind:     by_value
      - .offset:         24
        .size:           4
        .value_kind:     by_value
      - .offset:         32
        .size:           8
        .value_kind:     by_value
      - .address_space:  global
        .offset:         40
        .size:           8
        .value_kind:     global_buffer
      - .offset:         48
        .size:           8
        .value_kind:     by_value
      - .address_space:  global
        .offset:         56
        .size:           8
        .value_kind:     global_buffer
      - .offset:         64
        .size:           8
        .value_kind:     by_value
    .group_segment_fixed_size: 0
    .kernarg_segment_align: 8
    .kernarg_segment_size: 72
    .language:       OpenCL C
    .language_version:
      - 2
      - 0
    .max_flat_workgroup_size: 256
    .name:           _ZN9rocsolver6v33100L18geqr2_kernel_smallILi256EfifPKPfEEvT1_S5_T3_lS5_lPT2_lPT0_l
    .private_segment_fixed_size: 0
    .sgpr_count:     38
    .sgpr_spill_count: 0
    .symbol:         _ZN9rocsolver6v33100L18geqr2_kernel_smallILi256EfifPKPfEEvT1_S5_T3_lS5_lPT2_lPT0_l.kd
    .uniform_work_group_size: 1
    .uses_dynamic_stack: false
    .vgpr_count:     27
    .vgpr_spill_count: 0
    .wavefront_size: 32
  - .args:
      - .address_space:  global
        .offset:         0
        .size:           8
        .value_kind:     global_buffer
      - .offset:         8
        .size:           8
        .value_kind:     by_value
      - .offset:         16
        .size:           4
        .value_kind:     by_value
      - .offset:         20
        .size:           4
        .value_kind:     by_value
      - .offset:         24
        .size:           4
        .value_kind:     hidden_block_count_x
      - .offset:         28
        .size:           4
        .value_kind:     hidden_block_count_y
      - .offset:         32
        .size:           4
        .value_kind:     hidden_block_count_z
      - .offset:         36
        .size:           2
        .value_kind:     hidden_group_size_x
      - .offset:         38
        .size:           2
        .value_kind:     hidden_group_size_y
      - .offset:         40
        .size:           2
        .value_kind:     hidden_group_size_z
      - .offset:         42
        .size:           2
        .value_kind:     hidden_remainder_x
      - .offset:         44
        .size:           2
        .value_kind:     hidden_remainder_y
      - .offset:         46
        .size:           2
        .value_kind:     hidden_remainder_z
      - .offset:         64
        .size:           8
        .value_kind:     hidden_global_offset_x
      - .offset:         72
        .size:           8
        .value_kind:     hidden_global_offset_y
      - .offset:         80
        .size:           8
        .value_kind:     hidden_global_offset_z
      - .offset:         88
        .size:           2
        .value_kind:     hidden_grid_dims
    .group_segment_fixed_size: 0
    .kernarg_segment_align: 8
    .kernarg_segment_size: 280
    .language:       OpenCL C
    .language_version:
      - 2
      - 0
    .max_flat_workgroup_size: 1024
    .name:           _ZN9rocsolver6v33100L16reset_batch_infoIfiiPfEEvT2_lT0_T1_
    .private_segment_fixed_size: 0
    .sgpr_count:     14
    .sgpr_spill_count: 0
    .symbol:         _ZN9rocsolver6v33100L16reset_batch_infoIfiiPfEEvT2_lT0_T1_.kd
    .uniform_work_group_size: 1
    .uses_dynamic_stack: false
    .vgpr_count:     2
    .vgpr_spill_count: 0
    .wavefront_size: 32
  - .args:
      - .address_space:  global
        .offset:         0
        .size:           8
        .value_kind:     global_buffer
      - .offset:         8
        .size:           8
        .value_kind:     by_value
      - .offset:         16
        .size:           8
        .value_kind:     by_value
      - .address_space:  global
        .offset:         24
        .size:           8
        .value_kind:     global_buffer
      - .offset:         32
        .size:           8
        .value_kind:     by_value
      - .offset:         40
        .size:           4
        .value_kind:     by_value
      - .offset:         48
        .size:           8
        .value_kind:     by_value
      - .offset:         56
        .size:           4
        .value_kind:     by_value
      - .offset:         60
        .size:           1
        .value_kind:     by_value
      - .offset:         64
        .size:           4
        .value_kind:     hidden_block_count_x
      - .offset:         68
        .size:           4
        .value_kind:     hidden_block_count_y
      - .offset:         72
        .size:           4
        .value_kind:     hidden_block_count_z
      - .offset:         76
        .size:           2
        .value_kind:     hidden_group_size_x
      - .offset:         78
        .size:           2
        .value_kind:     hidden_group_size_y
      - .offset:         80
        .size:           2
        .value_kind:     hidden_group_size_z
      - .offset:         82
        .size:           2
        .value_kind:     hidden_remainder_x
      - .offset:         84
        .size:           2
        .value_kind:     hidden_remainder_y
      - .offset:         86
        .size:           2
        .value_kind:     hidden_remainder_z
      - .offset:         104
        .size:           8
        .value_kind:     hidden_global_offset_x
      - .offset:         112
        .size:           8
        .value_kind:     hidden_global_offset_y
      - .offset:         120
        .size:           8
        .value_kind:     hidden_global_offset_z
      - .offset:         128
        .size:           2
        .value_kind:     hidden_grid_dims
    .group_segment_fixed_size: 0
    .kernarg_segment_align: 8
    .kernarg_segment_size: 320
    .language:       OpenCL C
    .language_version:
      - 2
      - 0
    .max_flat_workgroup_size: 1024
    .name:           _ZN9rocsolver6v33100L8set_diagIfifPKPfTnNSt9enable_ifIXoont18rocblas_is_complexIT_E18rocblas_is_complexIT1_EEiE4typeELi0EEEvPS7_llT2_lT0_lSC_b
    .private_segment_fixed_size: 0
    .sgpr_count:     19
    .sgpr_spill_count: 0
    .symbol:         _ZN9rocsolver6v33100L8set_diagIfifPKPfTnNSt9enable_ifIXoont18rocblas_is_complexIT_E18rocblas_is_complexIT1_EEiE4typeELi0EEEvPS7_llT2_lT0_lSC_b.kd
    .uniform_work_group_size: 1
    .uses_dynamic_stack: false
    .vgpr_count:     4
    .vgpr_spill_count: 0
    .wavefront_size: 32
  - .args:
      - .address_space:  global
        .offset:         0
        .size:           8
        .value_kind:     global_buffer
      - .offset:         8
        .size:           8
        .value_kind:     by_value
      - .address_space:  global
        .offset:         16
        .size:           8
        .value_kind:     global_buffer
      - .address_space:  global
        .offset:         24
        .size:           8
        .value_kind:     global_buffer
      - .offset:         32
        .size:           8
        .value_kind:     by_value
      - .offset:         40
        .size:           8
        .value_kind:     by_value
      - .address_space:  global
        .offset:         48
        .size:           8
        .value_kind:     global_buffer
      - .offset:         56
        .size:           8
        .value_kind:     by_value
      - .offset:         64
        .size:           8
        .value_kind:     by_value
    .group_segment_fixed_size: 0
    .kernarg_segment_align: 8
    .kernarg_segment_size: 72
    .language:       OpenCL C
    .language_version:
      - 2
      - 0
    .max_flat_workgroup_size: 1024
    .name:           _ZN9rocsolver6v33100L11set_taubetaIfifPKPfEEvPT_lS6_T2_llPT1_ll
    .private_segment_fixed_size: 0
    .sgpr_count:     23
    .sgpr_spill_count: 0
    .symbol:         _ZN9rocsolver6v33100L11set_taubetaIfifPKPfEEvPT_lS6_T2_llPT1_ll.kd
    .uniform_work_group_size: 1
    .uses_dynamic_stack: false
    .vgpr_count:     8
    .vgpr_spill_count: 0
    .wavefront_size: 32
  - .args:
      - .offset:         0
        .size:           4
        .value_kind:     by_value
      - .offset:         4
        .size:           4
        .value_kind:     by_value
      - .address_space:  global
        .offset:         8
        .size:           8
        .value_kind:     global_buffer
      - .offset:         16
        .size:           8
        .value_kind:     by_value
      - .offset:         24
        .size:           4
        .value_kind:     by_value
      - .offset:         32
        .size:           8
        .value_kind:     by_value
    .group_segment_fixed_size: 0
    .kernarg_segment_align: 8
    .kernarg_segment_size: 40
    .language:       OpenCL C
    .language_version:
      - 2
      - 0
    .max_flat_workgroup_size: 1024
    .name:           _ZN9rocsolver6v33100L13conj_in_placeIfiPfTnNSt9enable_ifIXnt18rocblas_is_complexIT_EEiE4typeELi0EEEvT0_S7_T1_lS7_l
    .private_segment_fixed_size: 0
    .sgpr_count:     0
    .sgpr_spill_count: 0
    .symbol:         _ZN9rocsolver6v33100L13conj_in_placeIfiPfTnNSt9enable_ifIXnt18rocblas_is_complexIT_EEiE4typeELi0EEEvT0_S7_T1_lS7_l.kd
    .uniform_work_group_size: 1
    .uses_dynamic_stack: false
    .vgpr_count:     0
    .vgpr_spill_count: 0
    .wavefront_size: 32
  - .args:
      - .offset:         0
        .size:           4
        .value_kind:     by_value
      - .offset:         4
        .size:           4
        .value_kind:     by_value
      - .address_space:  global
        .offset:         8
        .size:           8
        .value_kind:     global_buffer
      - .offset:         16
        .size:           8
        .value_kind:     by_value
      - .offset:         24
        .size:           4
        .value_kind:     by_value
      - .offset:         32
        .size:           8
        .value_kind:     by_value
      - .address_space:  global
        .offset:         40
        .size:           8
        .value_kind:     global_buffer
      - .offset:         48
        .size:           8
        .value_kind:     by_value
      - .address_space:  global
        .offset:         56
        .size:           8
        .value_kind:     global_buffer
      - .offset:         64
        .size:           8
        .value_kind:     by_value
      - .offset:         72
        .size:           4
        .value_kind:     by_value
      - .offset:         80
        .size:           8
        .value_kind:     by_value
    .group_segment_fixed_size: 0
    .kernarg_segment_align: 8
    .kernarg_segment_size: 88
    .language:       OpenCL C
    .language_version:
      - 2
      - 0
    .max_flat_workgroup_size: 1024
    .name:           _ZN9rocsolver6v33100L16larf_left_kernelILi1024EfiPKPfEEvT1_S5_T2_lS5_lPKT0_lS6_lS5_l
    .private_segment_fixed_size: 0
    .sgpr_count:     26
    .sgpr_spill_count: 0
    .symbol:         _ZN9rocsolver6v33100L16larf_left_kernelILi1024EfiPKPfEEvT1_S5_T2_lS5_lPKT0_lS6_lS5_l.kd
    .uniform_work_group_size: 1
    .uses_dynamic_stack: false
    .vgpr_count:     12
    .vgpr_spill_count: 0
    .wavefront_size: 32
  - .args:
      - .offset:         0
        .size:           4
        .value_kind:     by_value
      - .offset:         4
        .size:           4
        .value_kind:     by_value
      - .address_space:  global
        .offset:         8
        .size:           8
        .value_kind:     global_buffer
      - .offset:         16
        .size:           8
        .value_kind:     by_value
      - .offset:         24
        .size:           4
        .value_kind:     by_value
      - .offset:         32
        .size:           8
        .value_kind:     by_value
      - .address_space:  global
        .offset:         40
        .size:           8
        .value_kind:     global_buffer
      - .offset:         48
        .size:           8
        .value_kind:     by_value
      - .address_space:  global
        .offset:         56
        .size:           8
        .value_kind:     global_buffer
      - .offset:         64
        .size:           8
        .value_kind:     by_value
      - .offset:         72
        .size:           4
        .value_kind:     by_value
      - .offset:         80
        .size:           8
        .value_kind:     by_value
    .group_segment_fixed_size: 0
    .kernarg_segment_align: 8
    .kernarg_segment_size: 88
    .language:       OpenCL C
    .language_version:
      - 2
      - 0
    .max_flat_workgroup_size: 1024
    .name:           _ZN9rocsolver6v33100L17larf_right_kernelILi1024EfiPKPfEEvT1_S5_T2_lS5_lPKT0_lS6_lS5_l
    .private_segment_fixed_size: 0
    .sgpr_count:     26
    .sgpr_spill_count: 0
    .symbol:         _ZN9rocsolver6v33100L17larf_right_kernelILi1024EfiPKPfEEvT1_S5_T2_lS5_lPKT0_lS6_lS5_l.kd
    .uniform_work_group_size: 1
    .uses_dynamic_stack: false
    .vgpr_count:     12
    .vgpr_spill_count: 0
    .wavefront_size: 32
  - .args:
      - .address_space:  global
        .offset:         0
        .size:           8
        .value_kind:     global_buffer
      - .address_space:  global
        .offset:         8
        .size:           8
        .value_kind:     global_buffer
      - .offset:         16
        .size:           8
        .value_kind:     by_value
      - .offset:         24
        .size:           4
        .value_kind:     by_value
      - .offset:         32
        .size:           4
        .value_kind:     hidden_block_count_x
      - .offset:         36
        .size:           4
        .value_kind:     hidden_block_count_y
      - .offset:         40
        .size:           4
        .value_kind:     hidden_block_count_z
      - .offset:         44
        .size:           2
        .value_kind:     hidden_group_size_x
      - .offset:         46
        .size:           2
        .value_kind:     hidden_group_size_y
      - .offset:         48
        .size:           2
        .value_kind:     hidden_group_size_z
      - .offset:         50
        .size:           2
        .value_kind:     hidden_remainder_x
      - .offset:         52
        .size:           2
        .value_kind:     hidden_remainder_y
      - .offset:         54
        .size:           2
        .value_kind:     hidden_remainder_z
      - .offset:         72
        .size:           8
        .value_kind:     hidden_global_offset_x
      - .offset:         80
        .size:           8
        .value_kind:     hidden_global_offset_y
      - .offset:         88
        .size:           8
        .value_kind:     hidden_global_offset_z
      - .offset:         96
        .size:           2
        .value_kind:     hidden_grid_dims
    .group_segment_fixed_size: 0
    .kernarg_segment_align: 8
    .kernarg_segment_size: 288
    .language:       OpenCL C
    .language_version:
      - 2
      - 0
    .max_flat_workgroup_size: 1024
    .name:           _ZN9rocsolver6v33100L9get_arrayIfiEEvPPT_S3_lT0_
    .private_segment_fixed_size: 0
    .sgpr_count:     7
    .sgpr_spill_count: 0
    .symbol:         _ZN9rocsolver6v33100L9get_arrayIfiEEvPPT_S3_lT0_.kd
    .uniform_work_group_size: 1
    .uses_dynamic_stack: false
    .vgpr_count:     4
    .vgpr_spill_count: 0
    .wavefront_size: 32
  - .args:
      - .address_space:  global
        .offset:         0
        .size:           8
        .value_kind:     global_buffer
      - .offset:         8
        .size:           8
        .value_kind:     by_value
      - .offset:         16
        .size:           8
        .value_kind:     by_value
      - .address_space:  global
        .offset:         24
        .size:           8
        .value_kind:     global_buffer
      - .offset:         32
        .size:           8
        .value_kind:     by_value
      - .offset:         40
        .size:           4
        .value_kind:     by_value
      - .offset:         48
        .size:           8
        .value_kind:     by_value
      - .offset:         56
        .size:           4
        .value_kind:     by_value
      - .offset:         64
        .size:           4
        .value_kind:     hidden_block_count_x
      - .offset:         68
        .size:           4
        .value_kind:     hidden_block_count_y
      - .offset:         72
        .size:           4
        .value_kind:     hidden_block_count_z
      - .offset:         76
        .size:           2
        .value_kind:     hidden_group_size_x
      - .offset:         78
        .size:           2
        .value_kind:     hidden_group_size_y
      - .offset:         80
        .size:           2
        .value_kind:     hidden_group_size_z
      - .offset:         82
        .size:           2
        .value_kind:     hidden_remainder_x
      - .offset:         84
        .size:           2
        .value_kind:     hidden_remainder_y
      - .offset:         86
        .size:           2
        .value_kind:     hidden_remainder_z
      - .offset:         104
        .size:           8
        .value_kind:     hidden_global_offset_x
      - .offset:         112
        .size:           8
        .value_kind:     hidden_global_offset_y
      - .offset:         120
        .size:           8
        .value_kind:     hidden_global_offset_z
      - .offset:         128
        .size:           2
        .value_kind:     hidden_grid_dims
    .group_segment_fixed_size: 0
    .kernarg_segment_align: 8
    .kernarg_segment_size: 320
    .language:       OpenCL C
    .language_version:
      - 2
      - 0
    .max_flat_workgroup_size: 1024
    .name:           _ZN9rocsolver6v33100L12restore_diagIfifPKPfEEvPT1_llT2_lT0_lS8_
    .private_segment_fixed_size: 0
    .sgpr_count:     14
    .sgpr_spill_count: 0
    .symbol:         _ZN9rocsolver6v33100L12restore_diagIfifPKPfEEvPT1_llT2_lT0_lS8_.kd
    .uniform_work_group_size: 1
    .uses_dynamic_stack: false
    .vgpr_count:     2
    .vgpr_spill_count: 0
    .wavefront_size: 32
  - .args:
      - .offset:         0
        .size:           4
        .value_kind:     by_value
      - .offset:         4
        .size:           4
        .value_kind:     by_value
      - .address_space:  global
        .offset:         8
        .size:           8
        .value_kind:     global_buffer
      - .offset:         16
        .size:           4
        .value_kind:     by_value
      - .offset:         20
        .size:           4
        .value_kind:     by_value
      - .offset:         24
        .size:           8
        .value_kind:     by_value
      - .address_space:  global
        .offset:         32
        .size:           8
        .value_kind:     global_buffer
      - .offset:         40
        .size:           8
        .value_kind:     by_value
      - .address_space:  global
        .offset:         48
        .size:           8
        .value_kind:     global_buffer
      - .offset:         56
        .size:           4
        .value_kind:     by_value
      - .offset:         64
        .size:           8
        .value_kind:     by_value
      - .offset:         72
        .size:           4
        .value_kind:     by_value
      - .offset:         76
        .size:           4
        .value_kind:     by_value
      - .offset:         80
        .size:           1
        .value_kind:     by_value
      - .offset:         88
        .size:           4
        .value_kind:     hidden_block_count_x
      - .offset:         92
        .size:           4
        .value_kind:     hidden_block_count_y
      - .offset:         96
        .size:           4
        .value_kind:     hidden_block_count_z
      - .offset:         100
        .size:           2
        .value_kind:     hidden_group_size_x
      - .offset:         102
        .size:           2
        .value_kind:     hidden_group_size_y
      - .offset:         104
        .size:           2
        .value_kind:     hidden_group_size_z
      - .offset:         106
        .size:           2
        .value_kind:     hidden_remainder_x
      - .offset:         108
        .size:           2
        .value_kind:     hidden_remainder_y
      - .offset:         110
        .size:           2
        .value_kind:     hidden_remainder_z
      - .offset:         128
        .size:           8
        .value_kind:     hidden_global_offset_x
      - .offset:         136
        .size:           8
        .value_kind:     hidden_global_offset_y
      - .offset:         144
        .size:           8
        .value_kind:     hidden_global_offset_z
      - .offset:         152
        .size:           2
        .value_kind:     hidden_grid_dims
    .group_segment_fixed_size: 0
    .kernarg_segment_align: 8
    .kernarg_segment_size: 344
    .language:       OpenCL C
    .language_version:
      - 2
      - 0
    .max_flat_workgroup_size: 1024
    .name:           _ZN9rocsolver6v33100L14set_triangularIfPKPfTnNSt9enable_ifIXnt18rocblas_is_complexIT_EEiE4typeELi0EEEviiT0_iilPS6_lSA_il15rocblas_direct_15rocblas_storev_b
    .private_segment_fixed_size: 0
    .sgpr_count:     24
    .sgpr_spill_count: 0
    .symbol:         _ZN9rocsolver6v33100L14set_triangularIfPKPfTnNSt9enable_ifIXnt18rocblas_is_complexIT_EEiE4typeELi0EEEviiT0_iilPS6_lSA_il15rocblas_direct_15rocblas_storev_b.kd
    .uniform_work_group_size: 1
    .uses_dynamic_stack: false
    .vgpr_count:     12
    .vgpr_spill_count: 0
    .wavefront_size: 32
  - .args:
      - .offset:         0
        .size:           4
        .value_kind:     by_value
      - .address_space:  global
        .offset:         8
        .size:           8
        .value_kind:     global_buffer
      - .offset:         16
        .size:           8
        .value_kind:     by_value
      - .offset:         24
        .size:           4
        .value_kind:     hidden_block_count_x
      - .offset:         28
        .size:           4
        .value_kind:     hidden_block_count_y
      - .offset:         32
        .size:           4
        .value_kind:     hidden_block_count_z
      - .offset:         36
        .size:           2
        .value_kind:     hidden_group_size_x
      - .offset:         38
        .size:           2
        .value_kind:     hidden_group_size_y
      - .offset:         40
        .size:           2
        .value_kind:     hidden_group_size_z
      - .offset:         42
        .size:           2
        .value_kind:     hidden_remainder_x
      - .offset:         44
        .size:           2
        .value_kind:     hidden_remainder_y
      - .offset:         46
        .size:           2
        .value_kind:     hidden_remainder_z
      - .offset:         64
        .size:           8
        .value_kind:     hidden_global_offset_x
      - .offset:         72
        .size:           8
        .value_kind:     hidden_global_offset_y
      - .offset:         80
        .size:           8
        .value_kind:     hidden_global_offset_z
      - .offset:         88
        .size:           2
        .value_kind:     hidden_grid_dims
    .group_segment_fixed_size: 0
    .kernarg_segment_align: 8
    .kernarg_segment_size: 280
    .language:       OpenCL C
    .language_version:
      - 2
      - 0
    .max_flat_workgroup_size: 1024
    .name:           _ZN9rocsolver6v33100L7set_tauIfEEviPT_l
    .private_segment_fixed_size: 0
    .sgpr_count:     10
    .sgpr_spill_count: 0
    .symbol:         _ZN9rocsolver6v33100L7set_tauIfEEviPT_l.kd
    .uniform_work_group_size: 1
    .uses_dynamic_stack: false
    .vgpr_count:     2
    .vgpr_spill_count: 0
    .wavefront_size: 32
  - .args:
      - .offset:         0
        .size:           4
        .value_kind:     by_value
      - .offset:         4
        .size:           4
        .value_kind:     by_value
      - .offset:         8
        .size:           4
        .value_kind:     by_value
      - .address_space:  global
        .offset:         16
        .size:           8
        .value_kind:     global_buffer
      - .offset:         24
        .size:           4
        .value_kind:     by_value
      - .offset:         28
        .size:           4
        .value_kind:     by_value
      - .offset:         32
        .size:           8
        .value_kind:     by_value
      - .address_space:  global
        .offset:         40
        .size:           8
        .value_kind:     global_buffer
      - .offset:         48
        .size:           8
        .value_kind:     by_value
      - .address_space:  global
        .offset:         56
        .size:           8
        .value_kind:     global_buffer
      - .offset:         64
        .size:           4
        .value_kind:     by_value
      - .offset:         72
        .size:           8
        .value_kind:     by_value
      - .offset:         80
        .size:           4
        .value_kind:     hidden_block_count_x
      - .offset:         84
        .size:           4
        .value_kind:     hidden_block_count_y
      - .offset:         88
        .size:           4
        .value_kind:     hidden_block_count_z
      - .offset:         92
        .size:           2
        .value_kind:     hidden_group_size_x
      - .offset:         94
        .size:           2
        .value_kind:     hidden_group_size_y
      - .offset:         96
        .size:           2
        .value_kind:     hidden_group_size_z
      - .offset:         98
        .size:           2
        .value_kind:     hidden_remainder_x
      - .offset:         100
        .size:           2
        .value_kind:     hidden_remainder_y
      - .offset:         102
        .size:           2
        .value_kind:     hidden_remainder_z
      - .offset:         120
        .size:           8
        .value_kind:     hidden_global_offset_x
      - .offset:         128
        .size:           8
        .value_kind:     hidden_global_offset_y
      - .offset:         136
        .size:           8
        .value_kind:     hidden_global_offset_z
      - .offset:         144
        .size:           2
        .value_kind:     hidden_grid_dims
      - .offset:         200
        .size:           4
        .value_kind:     hidden_dynamic_lds_size
    .group_segment_fixed_size: 0
    .kernarg_segment_align: 8
    .kernarg_segment_size: 336
    .language:       OpenCL C
    .language_version:
      - 2
      - 0
    .max_flat_workgroup_size: 1024
    .name:           _ZN9rocsolver6v33100L20larft_kernel_forwardIfPKPfEEv15rocblas_storev_iiT0_iilPT_lS8_il
    .private_segment_fixed_size: 0
    .sgpr_count:     46
    .sgpr_spill_count: 0
    .symbol:         _ZN9rocsolver6v33100L20larft_kernel_forwardIfPKPfEEv15rocblas_storev_iiT0_iilPT_lS8_il.kd
    .uniform_work_group_size: 1
    .uses_dynamic_stack: false
    .vgpr_count:     20
    .vgpr_spill_count: 0
    .wavefront_size: 32
  - .args:
      - .offset:         0
        .size:           4
        .value_kind:     by_value
      - .offset:         4
        .size:           4
        .value_kind:     by_value
      - .address_space:  global
        .offset:         8
        .size:           8
        .value_kind:     global_buffer
      - .offset:         16
        .size:           8
        .value_kind:     by_value
      - .offset:         24
        .size:           4
        .value_kind:     by_value
      - .offset:         32
        .size:           8
        .value_kind:     by_value
    .group_segment_fixed_size: 0
    .kernarg_segment_align: 8
    .kernarg_segment_size: 40
    .language:       OpenCL C
    .language_version:
      - 2
      - 0
    .max_flat_workgroup_size: 1024
    .name:           _ZN9rocsolver6v33100L13conj_in_placeIfiPKPfTnNSt9enable_ifIXnt18rocblas_is_complexIT_EEiE4typeELi0EEEvT0_S9_T1_lS9_l
    .private_segment_fixed_size: 0
    .sgpr_count:     0
    .sgpr_spill_count: 0
    .symbol:         _ZN9rocsolver6v33100L13conj_in_placeIfiPKPfTnNSt9enable_ifIXnt18rocblas_is_complexIT_EEiE4typeELi0EEEvT0_S9_T1_lS9_l.kd
    .uniform_work_group_size: 1
    .uses_dynamic_stack: false
    .vgpr_count:     0
    .vgpr_spill_count: 0
    .wavefront_size: 32
  - .args:
      - .offset:         0
        .size:           4
        .value_kind:     by_value
      - .offset:         4
        .size:           4
        .value_kind:     by_value
      - .offset:         8
        .size:           4
        .value_kind:     by_value
      - .address_space:  global
        .offset:         16
        .size:           8
        .value_kind:     global_buffer
      - .offset:         24
        .size:           4
        .value_kind:     by_value
      - .offset:         28
        .size:           4
        .value_kind:     by_value
      - .offset:         32
        .size:           8
        .value_kind:     by_value
      - .address_space:  global
        .offset:         40
        .size:           8
        .value_kind:     global_buffer
      - .offset:         48
        .size:           8
        .value_kind:     by_value
      - .address_space:  global
        .offset:         56
        .size:           8
        .value_kind:     global_buffer
      - .offset:         64
        .size:           4
        .value_kind:     by_value
      - .offset:         72
        .size:           8
        .value_kind:     by_value
      - .offset:         80
        .size:           4
        .value_kind:     hidden_block_count_x
      - .offset:         84
        .size:           4
        .value_kind:     hidden_block_count_y
      - .offset:         88
        .size:           4
        .value_kind:     hidden_block_count_z
      - .offset:         92
        .size:           2
        .value_kind:     hidden_group_size_x
      - .offset:         94
        .size:           2
        .value_kind:     hidden_group_size_y
      - .offset:         96
        .size:           2
        .value_kind:     hidden_group_size_z
      - .offset:         98
        .size:           2
        .value_kind:     hidden_remainder_x
      - .offset:         100
        .size:           2
        .value_kind:     hidden_remainder_y
      - .offset:         102
        .size:           2
        .value_kind:     hidden_remainder_z
      - .offset:         120
        .size:           8
        .value_kind:     hidden_global_offset_x
      - .offset:         128
        .size:           8
        .value_kind:     hidden_global_offset_y
      - .offset:         136
        .size:           8
        .value_kind:     hidden_global_offset_z
      - .offset:         144
        .size:           2
        .value_kind:     hidden_grid_dims
      - .offset:         200
        .size:           4
        .value_kind:     hidden_dynamic_lds_size
    .group_segment_fixed_size: 0
    .kernarg_segment_align: 8
    .kernarg_segment_size: 336
    .language:       OpenCL C
    .language_version:
      - 2
      - 0
    .max_flat_workgroup_size: 1024
    .name:           _ZN9rocsolver6v33100L21larft_kernel_backwardIfPKPfEEv15rocblas_storev_iiT0_iilPT_lS8_il
    .private_segment_fixed_size: 0
    .sgpr_count:     44
    .sgpr_spill_count: 0
    .symbol:         _ZN9rocsolver6v33100L21larft_kernel_backwardIfPKPfEEv15rocblas_storev_iiT0_iilPT_lS8_il.kd
    .uniform_work_group_size: 1
    .uses_dynamic_stack: false
    .vgpr_count:     16
    .vgpr_spill_count: 0
    .wavefront_size: 32
  - .args:
      - .offset:         0
        .size:           4
        .value_kind:     by_value
      - .offset:         4
        .size:           4
        .value_kind:     by_value
      - .address_space:  global
        .offset:         8
        .size:           8
        .value_kind:     global_buffer
      - .offset:         16
        .size:           4
        .value_kind:     by_value
      - .offset:         20
        .size:           4
        .value_kind:     by_value
      - .offset:         24
        .size:           8
        .value_kind:     by_value
      - .address_space:  global
        .offset:         32
        .size:           8
        .value_kind:     global_buffer
      - .offset:         40
        .size:           4
        .value_kind:     hidden_block_count_x
      - .offset:         44
        .size:           4
        .value_kind:     hidden_block_count_y
      - .offset:         48
        .size:           4
        .value_kind:     hidden_block_count_z
      - .offset:         52
        .size:           2
        .value_kind:     hidden_group_size_x
      - .offset:         54
        .size:           2
        .value_kind:     hidden_group_size_y
      - .offset:         56
        .size:           2
        .value_kind:     hidden_group_size_z
      - .offset:         58
        .size:           2
        .value_kind:     hidden_remainder_x
      - .offset:         60
        .size:           2
        .value_kind:     hidden_remainder_y
      - .offset:         62
        .size:           2
        .value_kind:     hidden_remainder_z
      - .offset:         80
        .size:           8
        .value_kind:     hidden_global_offset_x
      - .offset:         88
        .size:           8
        .value_kind:     hidden_global_offset_y
      - .offset:         96
        .size:           8
        .value_kind:     hidden_global_offset_z
      - .offset:         104
        .size:           2
        .value_kind:     hidden_grid_dims
    .group_segment_fixed_size: 0
    .kernarg_segment_align: 8
    .kernarg_segment_size: 296
    .language:       OpenCL C
    .language_version:
      - 2
      - 0
    .max_flat_workgroup_size: 1024
    .name:           _ZN9rocsolver6v33100L9copymatA1IfPKPfEEviiT0_iilPT_
    .private_segment_fixed_size: 0
    .sgpr_count:     20
    .sgpr_spill_count: 0
    .symbol:         _ZN9rocsolver6v33100L9copymatA1IfPKPfEEviiT0_iilPT_.kd
    .uniform_work_group_size: 1
    .uses_dynamic_stack: false
    .vgpr_count:     3
    .vgpr_spill_count: 0
    .wavefront_size: 32
  - .args:
      - .offset:         0
        .size:           4
        .value_kind:     by_value
      - .offset:         4
        .size:           4
        .value_kind:     by_value
      - .address_space:  global
        .offset:         8
        .size:           8
        .value_kind:     global_buffer
      - .offset:         16
        .size:           4
        .value_kind:     by_value
      - .offset:         20
        .size:           4
        .value_kind:     by_value
      - .offset:         24
        .size:           8
        .value_kind:     by_value
      - .address_space:  global
        .offset:         32
        .size:           8
        .value_kind:     global_buffer
      - .offset:         40
        .size:           4
        .value_kind:     hidden_block_count_x
      - .offset:         44
        .size:           4
        .value_kind:     hidden_block_count_y
      - .offset:         48
        .size:           4
        .value_kind:     hidden_block_count_z
      - .offset:         52
        .size:           2
        .value_kind:     hidden_group_size_x
      - .offset:         54
        .size:           2
        .value_kind:     hidden_group_size_y
      - .offset:         56
        .size:           2
        .value_kind:     hidden_group_size_z
      - .offset:         58
        .size:           2
        .value_kind:     hidden_remainder_x
      - .offset:         60
        .size:           2
        .value_kind:     hidden_remainder_y
      - .offset:         62
        .size:           2
        .value_kind:     hidden_remainder_z
      - .offset:         80
        .size:           8
        .value_kind:     hidden_global_offset_x
      - .offset:         88
        .size:           8
        .value_kind:     hidden_global_offset_y
      - .offset:         96
        .size:           8
        .value_kind:     hidden_global_offset_z
      - .offset:         104
        .size:           2
        .value_kind:     hidden_grid_dims
    .group_segment_fixed_size: 0
    .kernarg_segment_align: 8
    .kernarg_segment_size: 296
    .language:       OpenCL C
    .language_version:
      - 2
      - 0
    .max_flat_workgroup_size: 1024
    .name:           _ZN9rocsolver6v33100L8addmatA1IfPKPfEEviiT0_iilPT_
    .private_segment_fixed_size: 0
    .sgpr_count:     20
    .sgpr_spill_count: 0
    .symbol:         _ZN9rocsolver6v33100L8addmatA1IfPKPfEEviiT0_iilPT_.kd
    .uniform_work_group_size: 1
    .uses_dynamic_stack: false
    .vgpr_count:     4
    .vgpr_spill_count: 0
    .wavefront_size: 32
  - .args:
      - .offset:         0
        .size:           4
        .value_kind:     by_value
      - .address_space:  global
        .offset:         8
        .size:           8
        .value_kind:     global_buffer
      - .offset:         16
        .size:           4
        .value_kind:     by_value
      - .offset:         20
        .size:           4
        .value_kind:     by_value
      - .offset:         24
        .size:           8
        .value_kind:     by_value
      - .address_space:  global
        .offset:         32
        .size:           8
        .value_kind:     global_buffer
      - .offset:         40
        .size:           4
        .value_kind:     hidden_block_count_x
      - .offset:         44
        .size:           4
        .value_kind:     hidden_block_count_y
      - .offset:         48
        .size:           4
        .value_kind:     hidden_block_count_z
      - .offset:         52
        .size:           2
        .value_kind:     hidden_group_size_x
      - .offset:         54
        .size:           2
        .value_kind:     hidden_group_size_y
      - .offset:         56
        .size:           2
        .value_kind:     hidden_group_size_z
      - .offset:         58
        .size:           2
        .value_kind:     hidden_remainder_x
      - .offset:         60
        .size:           2
        .value_kind:     hidden_remainder_y
      - .offset:         62
        .size:           2
        .value_kind:     hidden_remainder_z
      - .offset:         80
        .size:           8
        .value_kind:     hidden_global_offset_x
      - .offset:         88
        .size:           8
        .value_kind:     hidden_global_offset_y
      - .offset:         96
        .size:           8
        .value_kind:     hidden_global_offset_z
      - .offset:         104
        .size:           2
        .value_kind:     hidden_grid_dims
    .group_segment_fixed_size: 4
    .kernarg_segment_align: 8
    .kernarg_segment_size: 296
    .language:       OpenCL C
    .language_version:
      - 2
      - 0
    .max_flat_workgroup_size: 1024
    .name:           _ZN9rocsolver6v33100L17check_singularityIfPKPfEEviT0_iilPi
    .private_segment_fixed_size: 0
    .sgpr_count:     18
    .sgpr_spill_count: 0
    .symbol:         _ZN9rocsolver6v33100L17check_singularityIfPKPfEEviT0_iilPi.kd
    .uniform_work_group_size: 1
    .uses_dynamic_stack: false
    .vgpr_count:     4
    .vgpr_spill_count: 0
    .wavefront_size: 32
  - .args:
      - .offset:         0
        .size:           4
        .value_kind:     by_value
      - .offset:         4
        .size:           4
        .value_kind:     by_value
      - .offset:         8
        .size:           4
        .value_kind:     by_value
      - .address_space:  global
        .offset:         16
        .size:           8
        .value_kind:     global_buffer
      - .offset:         24
        .size:           4
        .value_kind:     by_value
      - .offset:         28
        .size:           4
        .value_kind:     by_value
      - .offset:         32
        .size:           8
        .value_kind:     by_value
      - .address_space:  global
        .offset:         40
        .size:           8
        .value_kind:     global_buffer
      - .offset:         48
        .size:           16
        .value_kind:     by_value
      - .offset:         64
        .size:           4
        .value_kind:     by_value
      - .offset:         68
        .size:           4
        .value_kind:     by_value
      - .offset:         72
        .size:           4
        .value_kind:     hidden_block_count_x
      - .offset:         76
        .size:           4
        .value_kind:     hidden_block_count_y
      - .offset:         80
        .size:           4
        .value_kind:     hidden_block_count_z
      - .offset:         84
        .size:           2
        .value_kind:     hidden_group_size_x
      - .offset:         86
        .size:           2
        .value_kind:     hidden_group_size_y
      - .offset:         88
        .size:           2
        .value_kind:     hidden_group_size_z
      - .offset:         90
        .size:           2
        .value_kind:     hidden_remainder_x
      - .offset:         92
        .size:           2
        .value_kind:     hidden_remainder_y
      - .offset:         94
        .size:           2
        .value_kind:     hidden_remainder_z
      - .offset:         112
        .size:           8
        .value_kind:     hidden_global_offset_x
      - .offset:         120
        .size:           8
        .value_kind:     hidden_global_offset_y
      - .offset:         128
        .size:           8
        .value_kind:     hidden_global_offset_z
      - .offset:         136
        .size:           2
        .value_kind:     hidden_grid_dims
    .group_segment_fixed_size: 0
    .kernarg_segment_align: 8
    .kernarg_segment_size: 328
    .language:       OpenCL C
    .language_version:
      - 2
      - 0
    .max_flat_workgroup_size: 1024
    .name:           _ZN9rocsolver6v33100L8copy_matIfPKPfNS0_9info_maskEEEvNS0_17copymat_directionEiiT0_iilPT_T1_13rocblas_fill_17rocblas_diagonal_
    .private_segment_fixed_size: 0
    .sgpr_count:     20
    .sgpr_spill_count: 0
    .symbol:         _ZN9rocsolver6v33100L8copy_matIfPKPfNS0_9info_maskEEEvNS0_17copymat_directionEiiT0_iilPT_T1_13rocblas_fill_17rocblas_diagonal_.kd
    .uniform_work_group_size: 1
    .uses_dynamic_stack: false
    .vgpr_count:     3
    .vgpr_spill_count: 0
    .wavefront_size: 32
  - .args:
      - .offset:         0
        .size:           4
        .value_kind:     by_value
      - .offset:         4
        .size:           4
        .value_kind:     by_value
      - .offset:         8
        .size:           4
        .value_kind:     by_value
      - .address_space:  global
        .offset:         16
        .size:           8
        .value_kind:     global_buffer
      - .offset:         24
        .size:           4
        .value_kind:     by_value
      - .offset:         28
        .size:           4
        .value_kind:     by_value
      - .offset:         32
        .size:           8
        .value_kind:     by_value
      - .address_space:  global
        .offset:         40
        .size:           8
        .value_kind:     global_buffer
      - .offset:         48
        .size:           4
        .value_kind:     hidden_block_count_x
      - .offset:         52
        .size:           4
        .value_kind:     hidden_block_count_y
      - .offset:         56
        .size:           4
        .value_kind:     hidden_block_count_z
      - .offset:         60
        .size:           2
        .value_kind:     hidden_group_size_x
      - .offset:         62
        .size:           2
        .value_kind:     hidden_group_size_y
      - .offset:         64
        .size:           2
        .value_kind:     hidden_group_size_z
      - .offset:         66
        .size:           2
        .value_kind:     hidden_remainder_x
      - .offset:         68
        .size:           2
        .value_kind:     hidden_remainder_y
      - .offset:         70
        .size:           2
        .value_kind:     hidden_remainder_z
      - .offset:         88
        .size:           8
        .value_kind:     hidden_global_offset_x
      - .offset:         96
        .size:           8
        .value_kind:     hidden_global_offset_y
      - .offset:         104
        .size:           8
        .value_kind:     hidden_global_offset_z
      - .offset:         112
        .size:           2
        .value_kind:     hidden_grid_dims
    .group_segment_fixed_size: 0
    .kernarg_segment_align: 8
    .kernarg_segment_size: 304
    .language:       OpenCL C
    .language_version:
      - 2
      - 0
    .max_flat_workgroup_size: 1024
    .name:           _ZN9rocsolver6v33100L13gels_set_zeroIfPKPfEEviiiT0_iilPKi
    .private_segment_fixed_size: 0
    .sgpr_count:     14
    .sgpr_spill_count: 0
    .symbol:         _ZN9rocsolver6v33100L13gels_set_zeroIfPKPfEEviiiT0_iilPKi.kd
    .uniform_work_group_size: 1
    .uses_dynamic_stack: false
    .vgpr_count:     3
    .vgpr_spill_count: 0
    .wavefront_size: 32
  - .args:
      - .address_space:  global
        .offset:         0
        .size:           8
        .value_kind:     global_buffer
      - .offset:         8
        .size:           4
        .value_kind:     by_value
      - .offset:         16
        .size:           8
        .value_kind:     by_value
    .group_segment_fixed_size: 0
    .kernarg_segment_align: 8
    .kernarg_segment_size: 24
    .language:       OpenCL C
    .language_version:
      - 2
      - 0
    .max_flat_workgroup_size: 32
    .name:           _ZN9rocsolver6v33100L6iota_nIdEEvPT_jS2_
    .private_segment_fixed_size: 0
    .sgpr_count:     6
    .sgpr_spill_count: 0
    .symbol:         _ZN9rocsolver6v33100L6iota_nIdEEvPT_jS2_.kd
    .uniform_work_group_size: 1
    .uses_dynamic_stack: false
    .vgpr_count:     4
    .vgpr_spill_count: 0
    .wavefront_size: 32
  - .args:
      - .offset:         0
        .size:           4
        .value_kind:     by_value
      - .offset:         4
        .size:           4
        .value_kind:     by_value
      - .address_space:  global
        .offset:         8
        .size:           8
        .value_kind:     global_buffer
      - .offset:         16
        .size:           4
        .value_kind:     by_value
      - .offset:         20
        .size:           4
        .value_kind:     by_value
      - .offset:         24
        .size:           8
        .value_kind:     by_value
      - .offset:         32
        .size:           4
        .value_kind:     by_value
      - .offset:         40
        .size:           4
        .value_kind:     hidden_block_count_x
      - .offset:         44
        .size:           4
        .value_kind:     hidden_block_count_y
      - .offset:         48
        .size:           4
        .value_kind:     hidden_block_count_z
      - .offset:         52
        .size:           2
        .value_kind:     hidden_group_size_x
      - .offset:         54
        .size:           2
        .value_kind:     hidden_group_size_y
      - .offset:         56
        .size:           2
        .value_kind:     hidden_group_size_z
      - .offset:         58
        .size:           2
        .value_kind:     hidden_remainder_x
      - .offset:         60
        .size:           2
        .value_kind:     hidden_remainder_y
      - .offset:         62
        .size:           2
        .value_kind:     hidden_remainder_z
      - .offset:         80
        .size:           8
        .value_kind:     hidden_global_offset_x
      - .offset:         88
        .size:           8
        .value_kind:     hidden_global_offset_y
      - .offset:         96
        .size:           8
        .value_kind:     hidden_global_offset_z
      - .offset:         104
        .size:           2
        .value_kind:     hidden_grid_dims
    .group_segment_fixed_size: 0
    .kernarg_segment_align: 8
    .kernarg_segment_size: 296
    .language:       OpenCL C
    .language_version:
      - 2
      - 0
    .max_flat_workgroup_size: 1024
    .name:           _ZN9rocsolver6v33100L8set_zeroIdPKPdEEviiT0_iil13rocblas_fill_
    .private_segment_fixed_size: 0
    .sgpr_count:     13
    .sgpr_spill_count: 0
    .symbol:         _ZN9rocsolver6v33100L8set_zeroIdPKPdEEviiT0_iil13rocblas_fill_.kd
    .uniform_work_group_size: 1
    .uses_dynamic_stack: false
    .vgpr_count:     3
    .vgpr_spill_count: 0
    .wavefront_size: 32
  - .args:
      - .offset:         0
        .size:           4
        .value_kind:     by_value
      - .offset:         4
        .size:           4
        .value_kind:     by_value
      - .address_space:  global
        .offset:         8
        .size:           8
        .value_kind:     global_buffer
      - .offset:         16
        .size:           8
        .value_kind:     by_value
      - .offset:         24
        .size:           4
        .value_kind:     by_value
      - .offset:         32
        .size:           8
        .value_kind:     by_value
      - .address_space:  global
        .offset:         40
        .size:           8
        .value_kind:     global_buffer
      - .offset:         48
        .size:           8
        .value_kind:     by_value
      - .address_space:  global
        .offset:         56
        .size:           8
        .value_kind:     global_buffer
      - .offset:         64
        .size:           8
        .value_kind:     by_value
    .group_segment_fixed_size: 0
    .kernarg_segment_align: 8
    .kernarg_segment_size: 72
    .language:       OpenCL C
    .language_version:
      - 2
      - 0
    .max_flat_workgroup_size: 256
    .name:           _ZN9rocsolver6v33100L18geqr2_kernel_smallILi256EdidPKPdEEvT1_S5_T3_lS5_lPT2_lPT0_l
    .private_segment_fixed_size: 0
    .sgpr_count:     38
    .sgpr_spill_count: 0
    .symbol:         _ZN9rocsolver6v33100L18geqr2_kernel_smallILi256EdidPKPdEEvT1_S5_T3_lS5_lPT2_lPT0_l.kd
    .uniform_work_group_size: 1
    .uses_dynamic_stack: false
    .vgpr_count:     38
    .vgpr_spill_count: 0
    .wavefront_size: 32
  - .args:
      - .address_space:  global
        .offset:         0
        .size:           8
        .value_kind:     global_buffer
      - .offset:         8
        .size:           8
        .value_kind:     by_value
      - .offset:         16
        .size:           4
        .value_kind:     by_value
      - .offset:         20
        .size:           4
        .value_kind:     by_value
      - .offset:         24
        .size:           4
        .value_kind:     hidden_block_count_x
      - .offset:         28
        .size:           4
        .value_kind:     hidden_block_count_y
      - .offset:         32
        .size:           4
        .value_kind:     hidden_block_count_z
      - .offset:         36
        .size:           2
        .value_kind:     hidden_group_size_x
      - .offset:         38
        .size:           2
        .value_kind:     hidden_group_size_y
      - .offset:         40
        .size:           2
        .value_kind:     hidden_group_size_z
      - .offset:         42
        .size:           2
        .value_kind:     hidden_remainder_x
      - .offset:         44
        .size:           2
        .value_kind:     hidden_remainder_y
      - .offset:         46
        .size:           2
        .value_kind:     hidden_remainder_z
      - .offset:         64
        .size:           8
        .value_kind:     hidden_global_offset_x
      - .offset:         72
        .size:           8
        .value_kind:     hidden_global_offset_y
      - .offset:         80
        .size:           8
        .value_kind:     hidden_global_offset_z
      - .offset:         88
        .size:           2
        .value_kind:     hidden_grid_dims
    .group_segment_fixed_size: 0
    .kernarg_segment_align: 8
    .kernarg_segment_size: 280
    .language:       OpenCL C
    .language_version:
      - 2
      - 0
    .max_flat_workgroup_size: 1024
    .name:           _ZN9rocsolver6v33100L16reset_batch_infoIdiiPdEEvT2_lT0_T1_
    .private_segment_fixed_size: 0
    .sgpr_count:     10
    .sgpr_spill_count: 0
    .symbol:         _ZN9rocsolver6v33100L16reset_batch_infoIdiiPdEEvT2_lT0_T1_.kd
    .uniform_work_group_size: 1
    .uses_dynamic_stack: false
    .vgpr_count:     4
    .vgpr_spill_count: 0
    .wavefront_size: 32
  - .args:
      - .address_space:  global
        .offset:         0
        .size:           8
        .value_kind:     global_buffer
      - .offset:         8
        .size:           8
        .value_kind:     by_value
      - .offset:         16
        .size:           8
        .value_kind:     by_value
      - .address_space:  global
        .offset:         24
        .size:           8
        .value_kind:     global_buffer
      - .offset:         32
        .size:           8
        .value_kind:     by_value
      - .offset:         40
        .size:           4
        .value_kind:     by_value
      - .offset:         48
        .size:           8
        .value_kind:     by_value
      - .offset:         56
        .size:           4
        .value_kind:     by_value
      - .offset:         60
        .size:           1
        .value_kind:     by_value
      - .offset:         64
        .size:           4
        .value_kind:     hidden_block_count_x
      - .offset:         68
        .size:           4
        .value_kind:     hidden_block_count_y
      - .offset:         72
        .size:           4
        .value_kind:     hidden_block_count_z
      - .offset:         76
        .size:           2
        .value_kind:     hidden_group_size_x
      - .offset:         78
        .size:           2
        .value_kind:     hidden_group_size_y
      - .offset:         80
        .size:           2
        .value_kind:     hidden_group_size_z
      - .offset:         82
        .size:           2
        .value_kind:     hidden_remainder_x
      - .offset:         84
        .size:           2
        .value_kind:     hidden_remainder_y
      - .offset:         86
        .size:           2
        .value_kind:     hidden_remainder_z
      - .offset:         104
        .size:           8
        .value_kind:     hidden_global_offset_x
      - .offset:         112
        .size:           8
        .value_kind:     hidden_global_offset_y
      - .offset:         120
        .size:           8
        .value_kind:     hidden_global_offset_z
      - .offset:         128
        .size:           2
        .value_kind:     hidden_grid_dims
    .group_segment_fixed_size: 0
    .kernarg_segment_align: 8
    .kernarg_segment_size: 320
    .language:       OpenCL C
    .language_version:
      - 2
      - 0
    .max_flat_workgroup_size: 1024
    .name:           _ZN9rocsolver6v33100L8set_diagIdidPKPdTnNSt9enable_ifIXoont18rocblas_is_complexIT_E18rocblas_is_complexIT1_EEiE4typeELi0EEEvPS7_llT2_lT0_lSC_b
    .private_segment_fixed_size: 0
    .sgpr_count:     19
    .sgpr_spill_count: 0
    .symbol:         _ZN9rocsolver6v33100L8set_diagIdidPKPdTnNSt9enable_ifIXoont18rocblas_is_complexIT_E18rocblas_is_complexIT1_EEiE4typeELi0EEEvPS7_llT2_lT0_lSC_b.kd
    .uniform_work_group_size: 1
    .uses_dynamic_stack: false
    .vgpr_count:     6
    .vgpr_spill_count: 0
    .wavefront_size: 32
  - .args:
      - .address_space:  global
        .offset:         0
        .size:           8
        .value_kind:     global_buffer
      - .offset:         8
        .size:           8
        .value_kind:     by_value
      - .address_space:  global
        .offset:         16
        .size:           8
        .value_kind:     global_buffer
      - .address_space:  global
        .offset:         24
        .size:           8
        .value_kind:     global_buffer
      - .offset:         32
        .size:           8
        .value_kind:     by_value
      - .offset:         40
        .size:           8
        .value_kind:     by_value
      - .address_space:  global
        .offset:         48
        .size:           8
        .value_kind:     global_buffer
      - .offset:         56
        .size:           8
        .value_kind:     by_value
      - .offset:         64
        .size:           8
        .value_kind:     by_value
    .group_segment_fixed_size: 0
    .kernarg_segment_align: 8
    .kernarg_segment_size: 72
    .language:       OpenCL C
    .language_version:
      - 2
      - 0
    .max_flat_workgroup_size: 1024
    .name:           _ZN9rocsolver6v33100L11set_taubetaIdidPKPdEEvPT_lS6_T2_llPT1_ll
    .private_segment_fixed_size: 0
    .sgpr_count:     27
    .sgpr_spill_count: 0
    .symbol:         _ZN9rocsolver6v33100L11set_taubetaIdidPKPdEEvPT_lS6_T2_llPT1_ll.kd
    .uniform_work_group_size: 1
    .uses_dynamic_stack: false
    .vgpr_count:     13
    .vgpr_spill_count: 0
    .wavefront_size: 32
  - .args:
      - .offset:         0
        .size:           4
        .value_kind:     by_value
      - .offset:         4
        .size:           4
        .value_kind:     by_value
      - .address_space:  global
        .offset:         8
        .size:           8
        .value_kind:     global_buffer
      - .offset:         16
        .size:           8
        .value_kind:     by_value
      - .offset:         24
        .size:           4
        .value_kind:     by_value
      - .offset:         32
        .size:           8
        .value_kind:     by_value
    .group_segment_fixed_size: 0
    .kernarg_segment_align: 8
    .kernarg_segment_size: 40
    .language:       OpenCL C
    .language_version:
      - 2
      - 0
    .max_flat_workgroup_size: 1024
    .name:           _ZN9rocsolver6v33100L13conj_in_placeIdiPdTnNSt9enable_ifIXnt18rocblas_is_complexIT_EEiE4typeELi0EEEvT0_S7_T1_lS7_l
    .private_segment_fixed_size: 0
    .sgpr_count:     0
    .sgpr_spill_count: 0
    .symbol:         _ZN9rocsolver6v33100L13conj_in_placeIdiPdTnNSt9enable_ifIXnt18rocblas_is_complexIT_EEiE4typeELi0EEEvT0_S7_T1_lS7_l.kd
    .uniform_work_group_size: 1
    .uses_dynamic_stack: false
    .vgpr_count:     0
    .vgpr_spill_count: 0
    .wavefront_size: 32
  - .args:
      - .offset:         0
        .size:           4
        .value_kind:     by_value
      - .offset:         4
        .size:           4
        .value_kind:     by_value
      - .address_space:  global
        .offset:         8
        .size:           8
        .value_kind:     global_buffer
      - .offset:         16
        .size:           8
        .value_kind:     by_value
      - .offset:         24
        .size:           4
        .value_kind:     by_value
      - .offset:         32
        .size:           8
        .value_kind:     by_value
      - .address_space:  global
        .offset:         40
        .size:           8
        .value_kind:     global_buffer
      - .offset:         48
        .size:           8
        .value_kind:     by_value
      - .address_space:  global
        .offset:         56
        .size:           8
        .value_kind:     global_buffer
      - .offset:         64
        .size:           8
        .value_kind:     by_value
      - .offset:         72
        .size:           4
        .value_kind:     by_value
      - .offset:         80
        .size:           8
        .value_kind:     by_value
    .group_segment_fixed_size: 0
    .kernarg_segment_align: 8
    .kernarg_segment_size: 88
    .language:       OpenCL C
    .language_version:
      - 2
      - 0
    .max_flat_workgroup_size: 1024
    .name:           _ZN9rocsolver6v33100L16larf_left_kernelILi1024EdiPKPdEEvT1_S5_T2_lS5_lPKT0_lS6_lS5_l
    .private_segment_fixed_size: 0
    .sgpr_count:     26
    .sgpr_spill_count: 0
    .symbol:         _ZN9rocsolver6v33100L16larf_left_kernelILi1024EdiPKPdEEvT1_S5_T2_lS5_lPKT0_lS6_lS5_l.kd
    .uniform_work_group_size: 1
    .uses_dynamic_stack: false
    .vgpr_count:     14
    .vgpr_spill_count: 0
    .wavefront_size: 32
  - .args:
      - .offset:         0
        .size:           4
        .value_kind:     by_value
      - .offset:         4
        .size:           4
        .value_kind:     by_value
      - .address_space:  global
        .offset:         8
        .size:           8
        .value_kind:     global_buffer
      - .offset:         16
        .size:           8
        .value_kind:     by_value
      - .offset:         24
        .size:           4
        .value_kind:     by_value
      - .offset:         32
        .size:           8
        .value_kind:     by_value
      - .address_space:  global
        .offset:         40
        .size:           8
        .value_kind:     global_buffer
      - .offset:         48
        .size:           8
        .value_kind:     by_value
      - .address_space:  global
        .offset:         56
        .size:           8
        .value_kind:     global_buffer
      - .offset:         64
        .size:           8
        .value_kind:     by_value
      - .offset:         72
        .size:           4
        .value_kind:     by_value
      - .offset:         80
        .size:           8
        .value_kind:     by_value
    .group_segment_fixed_size: 0
    .kernarg_segment_align: 8
    .kernarg_segment_size: 88
    .language:       OpenCL C
    .language_version:
      - 2
      - 0
    .max_flat_workgroup_size: 1024
    .name:           _ZN9rocsolver6v33100L17larf_right_kernelILi1024EdiPKPdEEvT1_S5_T2_lS5_lPKT0_lS6_lS5_l
    .private_segment_fixed_size: 0
    .sgpr_count:     26
    .sgpr_spill_count: 0
    .symbol:         _ZN9rocsolver6v33100L17larf_right_kernelILi1024EdiPKPdEEvT1_S5_T2_lS5_lPKT0_lS6_lS5_l.kd
    .uniform_work_group_size: 1
    .uses_dynamic_stack: false
    .vgpr_count:     16
    .vgpr_spill_count: 0
    .wavefront_size: 32
  - .args:
      - .address_space:  global
        .offset:         0
        .size:           8
        .value_kind:     global_buffer
      - .address_space:  global
        .offset:         8
        .size:           8
        .value_kind:     global_buffer
      - .offset:         16
        .size:           8
        .value_kind:     by_value
      - .offset:         24
        .size:           4
        .value_kind:     by_value
      - .offset:         32
        .size:           4
        .value_kind:     hidden_block_count_x
      - .offset:         36
        .size:           4
        .value_kind:     hidden_block_count_y
      - .offset:         40
        .size:           4
        .value_kind:     hidden_block_count_z
      - .offset:         44
        .size:           2
        .value_kind:     hidden_group_size_x
      - .offset:         46
        .size:           2
        .value_kind:     hidden_group_size_y
      - .offset:         48
        .size:           2
        .value_kind:     hidden_group_size_z
      - .offset:         50
        .size:           2
        .value_kind:     hidden_remainder_x
      - .offset:         52
        .size:           2
        .value_kind:     hidden_remainder_y
      - .offset:         54
        .size:           2
        .value_kind:     hidden_remainder_z
      - .offset:         72
        .size:           8
        .value_kind:     hidden_global_offset_x
      - .offset:         80
        .size:           8
        .value_kind:     hidden_global_offset_y
      - .offset:         88
        .size:           8
        .value_kind:     hidden_global_offset_z
      - .offset:         96
        .size:           2
        .value_kind:     hidden_grid_dims
    .group_segment_fixed_size: 0
    .kernarg_segment_align: 8
    .kernarg_segment_size: 288
    .language:       OpenCL C
    .language_version:
      - 2
      - 0
    .max_flat_workgroup_size: 1024
    .name:           _ZN9rocsolver6v33100L9get_arrayIdiEEvPPT_S3_lT0_
    .private_segment_fixed_size: 0
    .sgpr_count:     7
    .sgpr_spill_count: 0
    .symbol:         _ZN9rocsolver6v33100L9get_arrayIdiEEvPPT_S3_lT0_.kd
    .uniform_work_group_size: 1
    .uses_dynamic_stack: false
    .vgpr_count:     4
    .vgpr_spill_count: 0
    .wavefront_size: 32
  - .args:
      - .address_space:  global
        .offset:         0
        .size:           8
        .value_kind:     global_buffer
      - .offset:         8
        .size:           8
        .value_kind:     by_value
      - .offset:         16
        .size:           8
        .value_kind:     by_value
      - .address_space:  global
        .offset:         24
        .size:           8
        .value_kind:     global_buffer
      - .offset:         32
        .size:           8
        .value_kind:     by_value
      - .offset:         40
        .size:           4
        .value_kind:     by_value
      - .offset:         48
        .size:           8
        .value_kind:     by_value
      - .offset:         56
        .size:           4
        .value_kind:     by_value
      - .offset:         64
        .size:           4
        .value_kind:     hidden_block_count_x
      - .offset:         68
        .size:           4
        .value_kind:     hidden_block_count_y
      - .offset:         72
        .size:           4
        .value_kind:     hidden_block_count_z
      - .offset:         76
        .size:           2
        .value_kind:     hidden_group_size_x
      - .offset:         78
        .size:           2
        .value_kind:     hidden_group_size_y
      - .offset:         80
        .size:           2
        .value_kind:     hidden_group_size_z
      - .offset:         82
        .size:           2
        .value_kind:     hidden_remainder_x
      - .offset:         84
        .size:           2
        .value_kind:     hidden_remainder_y
      - .offset:         86
        .size:           2
        .value_kind:     hidden_remainder_z
      - .offset:         104
        .size:           8
        .value_kind:     hidden_global_offset_x
      - .offset:         112
        .size:           8
        .value_kind:     hidden_global_offset_y
      - .offset:         120
        .size:           8
        .value_kind:     hidden_global_offset_z
      - .offset:         128
        .size:           2
        .value_kind:     hidden_grid_dims
    .group_segment_fixed_size: 0
    .kernarg_segment_align: 8
    .kernarg_segment_size: 320
    .language:       OpenCL C
    .language_version:
      - 2
      - 0
    .max_flat_workgroup_size: 1024
    .name:           _ZN9rocsolver6v33100L12restore_diagIdidPKPdEEvPT1_llT2_lT0_lS8_
    .private_segment_fixed_size: 0
    .sgpr_count:     14
    .sgpr_spill_count: 0
    .symbol:         _ZN9rocsolver6v33100L12restore_diagIdidPKPdEEvPT1_llT2_lT0_lS8_.kd
    .uniform_work_group_size: 1
    .uses_dynamic_stack: false
    .vgpr_count:     4
    .vgpr_spill_count: 0
    .wavefront_size: 32
  - .args:
      - .offset:         0
        .size:           4
        .value_kind:     by_value
      - .offset:         4
        .size:           4
        .value_kind:     by_value
      - .address_space:  global
        .offset:         8
        .size:           8
        .value_kind:     global_buffer
      - .offset:         16
        .size:           4
        .value_kind:     by_value
      - .offset:         20
        .size:           4
        .value_kind:     by_value
      - .offset:         24
        .size:           8
        .value_kind:     by_value
      - .address_space:  global
        .offset:         32
        .size:           8
        .value_kind:     global_buffer
      - .offset:         40
        .size:           8
        .value_kind:     by_value
      - .address_space:  global
        .offset:         48
        .size:           8
        .value_kind:     global_buffer
      - .offset:         56
        .size:           4
        .value_kind:     by_value
      - .offset:         64
        .size:           8
        .value_kind:     by_value
      - .offset:         72
        .size:           4
        .value_kind:     by_value
      - .offset:         76
        .size:           4
        .value_kind:     by_value
      - .offset:         80
        .size:           1
        .value_kind:     by_value
      - .offset:         88
        .size:           4
        .value_kind:     hidden_block_count_x
      - .offset:         92
        .size:           4
        .value_kind:     hidden_block_count_y
      - .offset:         96
        .size:           4
        .value_kind:     hidden_block_count_z
      - .offset:         100
        .size:           2
        .value_kind:     hidden_group_size_x
      - .offset:         102
        .size:           2
        .value_kind:     hidden_group_size_y
      - .offset:         104
        .size:           2
        .value_kind:     hidden_group_size_z
      - .offset:         106
        .size:           2
        .value_kind:     hidden_remainder_x
      - .offset:         108
        .size:           2
        .value_kind:     hidden_remainder_y
      - .offset:         110
        .size:           2
        .value_kind:     hidden_remainder_z
      - .offset:         128
        .size:           8
        .value_kind:     hidden_global_offset_x
      - .offset:         136
        .size:           8
        .value_kind:     hidden_global_offset_y
      - .offset:         144
        .size:           8
        .value_kind:     hidden_global_offset_z
      - .offset:         152
        .size:           2
        .value_kind:     hidden_grid_dims
    .group_segment_fixed_size: 0
    .kernarg_segment_align: 8
    .kernarg_segment_size: 344
    .language:       OpenCL C
    .language_version:
      - 2
      - 0
    .max_flat_workgroup_size: 1024
    .name:           _ZN9rocsolver6v33100L14set_triangularIdPKPdTnNSt9enable_ifIXnt18rocblas_is_complexIT_EEiE4typeELi0EEEviiT0_iilPS6_lSA_il15rocblas_direct_15rocblas_storev_b
    .private_segment_fixed_size: 0
    .sgpr_count:     24
    .sgpr_spill_count: 0
    .symbol:         _ZN9rocsolver6v33100L14set_triangularIdPKPdTnNSt9enable_ifIXnt18rocblas_is_complexIT_EEiE4typeELi0EEEviiT0_iilPS6_lSA_il15rocblas_direct_15rocblas_storev_b.kd
    .uniform_work_group_size: 1
    .uses_dynamic_stack: false
    .vgpr_count:     14
    .vgpr_spill_count: 0
    .wavefront_size: 32
  - .args:
      - .offset:         0
        .size:           4
        .value_kind:     by_value
      - .address_space:  global
        .offset:         8
        .size:           8
        .value_kind:     global_buffer
      - .offset:         16
        .size:           8
        .value_kind:     by_value
      - .offset:         24
        .size:           4
        .value_kind:     hidden_block_count_x
      - .offset:         28
        .size:           4
        .value_kind:     hidden_block_count_y
      - .offset:         32
        .size:           4
        .value_kind:     hidden_block_count_z
      - .offset:         36
        .size:           2
        .value_kind:     hidden_group_size_x
      - .offset:         38
        .size:           2
        .value_kind:     hidden_group_size_y
      - .offset:         40
        .size:           2
        .value_kind:     hidden_group_size_z
      - .offset:         42
        .size:           2
        .value_kind:     hidden_remainder_x
      - .offset:         44
        .size:           2
        .value_kind:     hidden_remainder_y
      - .offset:         46
        .size:           2
        .value_kind:     hidden_remainder_z
      - .offset:         64
        .size:           8
        .value_kind:     hidden_global_offset_x
      - .offset:         72
        .size:           8
        .value_kind:     hidden_global_offset_y
      - .offset:         80
        .size:           8
        .value_kind:     hidden_global_offset_z
      - .offset:         88
        .size:           2
        .value_kind:     hidden_grid_dims
    .group_segment_fixed_size: 0
    .kernarg_segment_align: 8
    .kernarg_segment_size: 280
    .language:       OpenCL C
    .language_version:
      - 2
      - 0
    .max_flat_workgroup_size: 1024
    .name:           _ZN9rocsolver6v33100L7set_tauIdEEviPT_l
    .private_segment_fixed_size: 0
    .sgpr_count:     10
    .sgpr_spill_count: 0
    .symbol:         _ZN9rocsolver6v33100L7set_tauIdEEviPT_l.kd
    .uniform_work_group_size: 1
    .uses_dynamic_stack: false
    .vgpr_count:     4
    .vgpr_spill_count: 0
    .wavefront_size: 32
  - .args:
      - .offset:         0
        .size:           4
        .value_kind:     by_value
      - .offset:         4
        .size:           4
        .value_kind:     by_value
      - .offset:         8
        .size:           4
        .value_kind:     by_value
      - .address_space:  global
        .offset:         16
        .size:           8
        .value_kind:     global_buffer
      - .offset:         24
        .size:           4
        .value_kind:     by_value
      - .offset:         28
        .size:           4
        .value_kind:     by_value
      - .offset:         32
        .size:           8
        .value_kind:     by_value
      - .address_space:  global
        .offset:         40
        .size:           8
        .value_kind:     global_buffer
      - .offset:         48
        .size:           8
        .value_kind:     by_value
      - .address_space:  global
        .offset:         56
        .size:           8
        .value_kind:     global_buffer
      - .offset:         64
        .size:           4
        .value_kind:     by_value
      - .offset:         72
        .size:           8
        .value_kind:     by_value
      - .offset:         80
        .size:           4
        .value_kind:     hidden_block_count_x
      - .offset:         84
        .size:           4
        .value_kind:     hidden_block_count_y
      - .offset:         88
        .size:           4
        .value_kind:     hidden_block_count_z
      - .offset:         92
        .size:           2
        .value_kind:     hidden_group_size_x
      - .offset:         94
        .size:           2
        .value_kind:     hidden_group_size_y
      - .offset:         96
        .size:           2
        .value_kind:     hidden_group_size_z
      - .offset:         98
        .size:           2
        .value_kind:     hidden_remainder_x
      - .offset:         100
        .size:           2
        .value_kind:     hidden_remainder_y
      - .offset:         102
        .size:           2
        .value_kind:     hidden_remainder_z
      - .offset:         120
        .size:           8
        .value_kind:     hidden_global_offset_x
      - .offset:         128
        .size:           8
        .value_kind:     hidden_global_offset_y
      - .offset:         136
        .size:           8
        .value_kind:     hidden_global_offset_z
      - .offset:         144
        .size:           2
        .value_kind:     hidden_grid_dims
      - .offset:         200
        .size:           4
        .value_kind:     hidden_dynamic_lds_size
    .group_segment_fixed_size: 0
    .kernarg_segment_align: 8
    .kernarg_segment_size: 336
    .language:       OpenCL C
    .language_version:
      - 2
      - 0
    .max_flat_workgroup_size: 1024
    .name:           _ZN9rocsolver6v33100L20larft_kernel_forwardIdPKPdEEv15rocblas_storev_iiT0_iilPT_lS8_il
    .private_segment_fixed_size: 0
    .sgpr_count:     46
    .sgpr_spill_count: 0
    .symbol:         _ZN9rocsolver6v33100L20larft_kernel_forwardIdPKPdEEv15rocblas_storev_iiT0_iilPT_lS8_il.kd
    .uniform_work_group_size: 1
    .uses_dynamic_stack: false
    .vgpr_count:     22
    .vgpr_spill_count: 0
    .wavefront_size: 32
  - .args:
      - .offset:         0
        .size:           4
        .value_kind:     by_value
      - .offset:         4
        .size:           4
        .value_kind:     by_value
      - .address_space:  global
        .offset:         8
        .size:           8
        .value_kind:     global_buffer
      - .offset:         16
        .size:           8
        .value_kind:     by_value
      - .offset:         24
        .size:           4
        .value_kind:     by_value
      - .offset:         32
        .size:           8
        .value_kind:     by_value
    .group_segment_fixed_size: 0
    .kernarg_segment_align: 8
    .kernarg_segment_size: 40
    .language:       OpenCL C
    .language_version:
      - 2
      - 0
    .max_flat_workgroup_size: 1024
    .name:           _ZN9rocsolver6v33100L13conj_in_placeIdiPKPdTnNSt9enable_ifIXnt18rocblas_is_complexIT_EEiE4typeELi0EEEvT0_S9_T1_lS9_l
    .private_segment_fixed_size: 0
    .sgpr_count:     0
    .sgpr_spill_count: 0
    .symbol:         _ZN9rocsolver6v33100L13conj_in_placeIdiPKPdTnNSt9enable_ifIXnt18rocblas_is_complexIT_EEiE4typeELi0EEEvT0_S9_T1_lS9_l.kd
    .uniform_work_group_size: 1
    .uses_dynamic_stack: false
    .vgpr_count:     0
    .vgpr_spill_count: 0
    .wavefront_size: 32
  - .args:
      - .offset:         0
        .size:           4
        .value_kind:     by_value
      - .offset:         4
        .size:           4
        .value_kind:     by_value
      - .offset:         8
        .size:           4
        .value_kind:     by_value
      - .address_space:  global
        .offset:         16
        .size:           8
        .value_kind:     global_buffer
      - .offset:         24
        .size:           4
        .value_kind:     by_value
      - .offset:         28
        .size:           4
        .value_kind:     by_value
      - .offset:         32
        .size:           8
        .value_kind:     by_value
      - .address_space:  global
        .offset:         40
        .size:           8
        .value_kind:     global_buffer
      - .offset:         48
        .size:           8
        .value_kind:     by_value
      - .address_space:  global
        .offset:         56
        .size:           8
        .value_kind:     global_buffer
      - .offset:         64
        .size:           4
        .value_kind:     by_value
      - .offset:         72
        .size:           8
        .value_kind:     by_value
      - .offset:         80
        .size:           4
        .value_kind:     hidden_block_count_x
      - .offset:         84
        .size:           4
        .value_kind:     hidden_block_count_y
      - .offset:         88
        .size:           4
        .value_kind:     hidden_block_count_z
      - .offset:         92
        .size:           2
        .value_kind:     hidden_group_size_x
      - .offset:         94
        .size:           2
        .value_kind:     hidden_group_size_y
      - .offset:         96
        .size:           2
        .value_kind:     hidden_group_size_z
      - .offset:         98
        .size:           2
        .value_kind:     hidden_remainder_x
      - .offset:         100
        .size:           2
        .value_kind:     hidden_remainder_y
      - .offset:         102
        .size:           2
        .value_kind:     hidden_remainder_z
      - .offset:         120
        .size:           8
        .value_kind:     hidden_global_offset_x
      - .offset:         128
        .size:           8
        .value_kind:     hidden_global_offset_y
      - .offset:         136
        .size:           8
        .value_kind:     hidden_global_offset_z
      - .offset:         144
        .size:           2
        .value_kind:     hidden_grid_dims
      - .offset:         200
        .size:           4
        .value_kind:     hidden_dynamic_lds_size
    .group_segment_fixed_size: 0
    .kernarg_segment_align: 8
    .kernarg_segment_size: 336
    .language:       OpenCL C
    .language_version:
      - 2
      - 0
    .max_flat_workgroup_size: 1024
    .name:           _ZN9rocsolver6v33100L21larft_kernel_backwardIdPKPdEEv15rocblas_storev_iiT0_iilPT_lS8_il
    .private_segment_fixed_size: 0
    .sgpr_count:     44
    .sgpr_spill_count: 0
    .symbol:         _ZN9rocsolver6v33100L21larft_kernel_backwardIdPKPdEEv15rocblas_storev_iiT0_iilPT_lS8_il.kd
    .uniform_work_group_size: 1
    .uses_dynamic_stack: false
    .vgpr_count:     20
    .vgpr_spill_count: 0
    .wavefront_size: 32
  - .args:
      - .offset:         0
        .size:           4
        .value_kind:     by_value
      - .offset:         4
        .size:           4
        .value_kind:     by_value
      - .address_space:  global
        .offset:         8
        .size:           8
        .value_kind:     global_buffer
      - .offset:         16
        .size:           4
        .value_kind:     by_value
      - .offset:         20
        .size:           4
        .value_kind:     by_value
      - .offset:         24
        .size:           8
        .value_kind:     by_value
      - .address_space:  global
        .offset:         32
        .size:           8
        .value_kind:     global_buffer
      - .offset:         40
        .size:           4
        .value_kind:     hidden_block_count_x
      - .offset:         44
        .size:           4
        .value_kind:     hidden_block_count_y
      - .offset:         48
        .size:           4
        .value_kind:     hidden_block_count_z
      - .offset:         52
        .size:           2
        .value_kind:     hidden_group_size_x
      - .offset:         54
        .size:           2
        .value_kind:     hidden_group_size_y
      - .offset:         56
        .size:           2
        .value_kind:     hidden_group_size_z
      - .offset:         58
        .size:           2
        .value_kind:     hidden_remainder_x
      - .offset:         60
        .size:           2
        .value_kind:     hidden_remainder_y
      - .offset:         62
        .size:           2
        .value_kind:     hidden_remainder_z
      - .offset:         80
        .size:           8
        .value_kind:     hidden_global_offset_x
      - .offset:         88
        .size:           8
        .value_kind:     hidden_global_offset_y
      - .offset:         96
        .size:           8
        .value_kind:     hidden_global_offset_z
      - .offset:         104
        .size:           2
        .value_kind:     hidden_grid_dims
    .group_segment_fixed_size: 0
    .kernarg_segment_align: 8
    .kernarg_segment_size: 296
    .language:       OpenCL C
    .language_version:
      - 2
      - 0
    .max_flat_workgroup_size: 1024
    .name:           _ZN9rocsolver6v33100L9copymatA1IdPKPdEEviiT0_iilPT_
    .private_segment_fixed_size: 0
    .sgpr_count:     20
    .sgpr_spill_count: 0
    .symbol:         _ZN9rocsolver6v33100L9copymatA1IdPKPdEEviiT0_iilPT_.kd
    .uniform_work_group_size: 1
    .uses_dynamic_stack: false
    .vgpr_count:     4
    .vgpr_spill_count: 0
    .wavefront_size: 32
  - .args:
      - .offset:         0
        .size:           4
        .value_kind:     by_value
      - .offset:         4
        .size:           4
        .value_kind:     by_value
      - .address_space:  global
        .offset:         8
        .size:           8
        .value_kind:     global_buffer
      - .offset:         16
        .size:           4
        .value_kind:     by_value
      - .offset:         20
        .size:           4
        .value_kind:     by_value
      - .offset:         24
        .size:           8
        .value_kind:     by_value
      - .address_space:  global
        .offset:         32
        .size:           8
        .value_kind:     global_buffer
      - .offset:         40
        .size:           4
        .value_kind:     hidden_block_count_x
      - .offset:         44
        .size:           4
        .value_kind:     hidden_block_count_y
      - .offset:         48
        .size:           4
        .value_kind:     hidden_block_count_z
      - .offset:         52
        .size:           2
        .value_kind:     hidden_group_size_x
      - .offset:         54
        .size:           2
        .value_kind:     hidden_group_size_y
      - .offset:         56
        .size:           2
        .value_kind:     hidden_group_size_z
      - .offset:         58
        .size:           2
        .value_kind:     hidden_remainder_x
      - .offset:         60
        .size:           2
        .value_kind:     hidden_remainder_y
      - .offset:         62
        .size:           2
        .value_kind:     hidden_remainder_z
      - .offset:         80
        .size:           8
        .value_kind:     hidden_global_offset_x
      - .offset:         88
        .size:           8
        .value_kind:     hidden_global_offset_y
      - .offset:         96
        .size:           8
        .value_kind:     hidden_global_offset_z
      - .offset:         104
        .size:           2
        .value_kind:     hidden_grid_dims
    .group_segment_fixed_size: 0
    .kernarg_segment_align: 8
    .kernarg_segment_size: 296
    .language:       OpenCL C
    .language_version:
      - 2
      - 0
    .max_flat_workgroup_size: 1024
    .name:           _ZN9rocsolver6v33100L8addmatA1IdPKPdEEviiT0_iilPT_
    .private_segment_fixed_size: 0
    .sgpr_count:     20
    .sgpr_spill_count: 0
    .symbol:         _ZN9rocsolver6v33100L8addmatA1IdPKPdEEviiT0_iilPT_.kd
    .uniform_work_group_size: 1
    .uses_dynamic_stack: false
    .vgpr_count:     6
    .vgpr_spill_count: 0
    .wavefront_size: 32
  - .args:
      - .offset:         0
        .size:           4
        .value_kind:     by_value
      - .address_space:  global
        .offset:         8
        .size:           8
        .value_kind:     global_buffer
      - .offset:         16
        .size:           4
        .value_kind:     by_value
      - .offset:         20
        .size:           4
        .value_kind:     by_value
      - .offset:         24
        .size:           8
        .value_kind:     by_value
      - .address_space:  global
        .offset:         32
        .size:           8
        .value_kind:     global_buffer
      - .offset:         40
        .size:           4
        .value_kind:     hidden_block_count_x
      - .offset:         44
        .size:           4
        .value_kind:     hidden_block_count_y
      - .offset:         48
        .size:           4
        .value_kind:     hidden_block_count_z
      - .offset:         52
        .size:           2
        .value_kind:     hidden_group_size_x
      - .offset:         54
        .size:           2
        .value_kind:     hidden_group_size_y
      - .offset:         56
        .size:           2
        .value_kind:     hidden_group_size_z
      - .offset:         58
        .size:           2
        .value_kind:     hidden_remainder_x
      - .offset:         60
        .size:           2
        .value_kind:     hidden_remainder_y
      - .offset:         62
        .size:           2
        .value_kind:     hidden_remainder_z
      - .offset:         80
        .size:           8
        .value_kind:     hidden_global_offset_x
      - .offset:         88
        .size:           8
        .value_kind:     hidden_global_offset_y
      - .offset:         96
        .size:           8
        .value_kind:     hidden_global_offset_z
      - .offset:         104
        .size:           2
        .value_kind:     hidden_grid_dims
    .group_segment_fixed_size: 4
    .kernarg_segment_align: 8
    .kernarg_segment_size: 296
    .language:       OpenCL C
    .language_version:
      - 2
      - 0
    .max_flat_workgroup_size: 1024
    .name:           _ZN9rocsolver6v33100L17check_singularityIdPKPdEEviT0_iilPi
    .private_segment_fixed_size: 0
    .sgpr_count:     18
    .sgpr_spill_count: 0
    .symbol:         _ZN9rocsolver6v33100L17check_singularityIdPKPdEEviT0_iilPi.kd
    .uniform_work_group_size: 1
    .uses_dynamic_stack: false
    .vgpr_count:     4
    .vgpr_spill_count: 0
    .wavefront_size: 32
  - .args:
      - .offset:         0
        .size:           4
        .value_kind:     by_value
      - .offset:         4
        .size:           4
        .value_kind:     by_value
      - .offset:         8
        .size:           4
        .value_kind:     by_value
      - .address_space:  global
        .offset:         16
        .size:           8
        .value_kind:     global_buffer
      - .offset:         24
        .size:           4
        .value_kind:     by_value
      - .offset:         28
        .size:           4
        .value_kind:     by_value
      - .offset:         32
        .size:           8
        .value_kind:     by_value
      - .address_space:  global
        .offset:         40
        .size:           8
        .value_kind:     global_buffer
      - .offset:         48
        .size:           16
        .value_kind:     by_value
      - .offset:         64
        .size:           4
        .value_kind:     by_value
      - .offset:         68
        .size:           4
        .value_kind:     by_value
      - .offset:         72
        .size:           4
        .value_kind:     hidden_block_count_x
      - .offset:         76
        .size:           4
        .value_kind:     hidden_block_count_y
      - .offset:         80
        .size:           4
        .value_kind:     hidden_block_count_z
      - .offset:         84
        .size:           2
        .value_kind:     hidden_group_size_x
      - .offset:         86
        .size:           2
        .value_kind:     hidden_group_size_y
      - .offset:         88
        .size:           2
        .value_kind:     hidden_group_size_z
      - .offset:         90
        .size:           2
        .value_kind:     hidden_remainder_x
      - .offset:         92
        .size:           2
        .value_kind:     hidden_remainder_y
      - .offset:         94
        .size:           2
        .value_kind:     hidden_remainder_z
      - .offset:         112
        .size:           8
        .value_kind:     hidden_global_offset_x
      - .offset:         120
        .size:           8
        .value_kind:     hidden_global_offset_y
      - .offset:         128
        .size:           8
        .value_kind:     hidden_global_offset_z
      - .offset:         136
        .size:           2
        .value_kind:     hidden_grid_dims
    .group_segment_fixed_size: 0
    .kernarg_segment_align: 8
    .kernarg_segment_size: 328
    .language:       OpenCL C
    .language_version:
      - 2
      - 0
    .max_flat_workgroup_size: 1024
    .name:           _ZN9rocsolver6v33100L8copy_matIdPKPdNS0_9info_maskEEEvNS0_17copymat_directionEiiT0_iilPT_T1_13rocblas_fill_17rocblas_diagonal_
    .private_segment_fixed_size: 0
    .sgpr_count:     20
    .sgpr_spill_count: 0
    .symbol:         _ZN9rocsolver6v33100L8copy_matIdPKPdNS0_9info_maskEEEvNS0_17copymat_directionEiiT0_iilPT_T1_13rocblas_fill_17rocblas_diagonal_.kd
    .uniform_work_group_size: 1
    .uses_dynamic_stack: false
    .vgpr_count:     6
    .vgpr_spill_count: 0
    .wavefront_size: 32
  - .args:
      - .offset:         0
        .size:           4
        .value_kind:     by_value
      - .offset:         4
        .size:           4
        .value_kind:     by_value
      - .offset:         8
        .size:           4
        .value_kind:     by_value
      - .address_space:  global
        .offset:         16
        .size:           8
        .value_kind:     global_buffer
      - .offset:         24
        .size:           4
        .value_kind:     by_value
      - .offset:         28
        .size:           4
        .value_kind:     by_value
      - .offset:         32
        .size:           8
        .value_kind:     by_value
      - .address_space:  global
        .offset:         40
        .size:           8
        .value_kind:     global_buffer
      - .offset:         48
        .size:           4
        .value_kind:     hidden_block_count_x
      - .offset:         52
        .size:           4
        .value_kind:     hidden_block_count_y
      - .offset:         56
        .size:           4
        .value_kind:     hidden_block_count_z
      - .offset:         60
        .size:           2
        .value_kind:     hidden_group_size_x
      - .offset:         62
        .size:           2
        .value_kind:     hidden_group_size_y
      - .offset:         64
        .size:           2
        .value_kind:     hidden_group_size_z
      - .offset:         66
        .size:           2
        .value_kind:     hidden_remainder_x
      - .offset:         68
        .size:           2
        .value_kind:     hidden_remainder_y
      - .offset:         70
        .size:           2
        .value_kind:     hidden_remainder_z
      - .offset:         88
        .size:           8
        .value_kind:     hidden_global_offset_x
      - .offset:         96
        .size:           8
        .value_kind:     hidden_global_offset_y
      - .offset:         104
        .size:           8
        .value_kind:     hidden_global_offset_z
      - .offset:         112
        .size:           2
        .value_kind:     hidden_grid_dims
    .group_segment_fixed_size: 0
    .kernarg_segment_align: 8
    .kernarg_segment_size: 304
    .language:       OpenCL C
    .language_version:
      - 2
      - 0
    .max_flat_workgroup_size: 1024
    .name:           _ZN9rocsolver6v33100L13gels_set_zeroIdPKPdEEviiiT0_iilPKi
    .private_segment_fixed_size: 0
    .sgpr_count:     14
    .sgpr_spill_count: 0
    .symbol:         _ZN9rocsolver6v33100L13gels_set_zeroIdPKPdEEviiiT0_iilPKi.kd
    .uniform_work_group_size: 1
    .uses_dynamic_stack: false
    .vgpr_count:     3
    .vgpr_spill_count: 0
    .wavefront_size: 32
  - .args:
      - .address_space:  global
        .offset:         0
        .size:           8
        .value_kind:     global_buffer
      - .offset:         8
        .size:           4
        .value_kind:     by_value
      - .offset:         12
        .size:           8
        .value_kind:     by_value
    .group_segment_fixed_size: 0
    .kernarg_segment_align: 8
    .kernarg_segment_size: 20
    .language:       OpenCL C
    .language_version:
      - 2
      - 0
    .max_flat_workgroup_size: 32
    .name:           _ZN9rocsolver6v33100L6iota_nI19rocblas_complex_numIfEEEvPT_jS4_
    .private_segment_fixed_size: 0
    .sgpr_count:     8
    .sgpr_spill_count: 0
    .symbol:         _ZN9rocsolver6v33100L6iota_nI19rocblas_complex_numIfEEEvPT_jS4_.kd
    .uniform_work_group_size: 1
    .uses_dynamic_stack: false
    .vgpr_count:     6
    .vgpr_spill_count: 0
    .wavefront_size: 32
  - .args:
      - .offset:         0
        .size:           4
        .value_kind:     by_value
      - .offset:         4
        .size:           4
        .value_kind:     by_value
      - .address_space:  global
        .offset:         8
        .size:           8
        .value_kind:     global_buffer
      - .offset:         16
        .size:           4
        .value_kind:     by_value
      - .offset:         20
        .size:           4
        .value_kind:     by_value
      - .offset:         24
        .size:           8
        .value_kind:     by_value
      - .offset:         32
        .size:           4
        .value_kind:     by_value
      - .offset:         40
        .size:           4
        .value_kind:     hidden_block_count_x
      - .offset:         44
        .size:           4
        .value_kind:     hidden_block_count_y
      - .offset:         48
        .size:           4
        .value_kind:     hidden_block_count_z
      - .offset:         52
        .size:           2
        .value_kind:     hidden_group_size_x
      - .offset:         54
        .size:           2
        .value_kind:     hidden_group_size_y
      - .offset:         56
        .size:           2
        .value_kind:     hidden_group_size_z
      - .offset:         58
        .size:           2
        .value_kind:     hidden_remainder_x
      - .offset:         60
        .size:           2
        .value_kind:     hidden_remainder_y
      - .offset:         62
        .size:           2
        .value_kind:     hidden_remainder_z
      - .offset:         80
        .size:           8
        .value_kind:     hidden_global_offset_x
      - .offset:         88
        .size:           8
        .value_kind:     hidden_global_offset_y
      - .offset:         96
        .size:           8
        .value_kind:     hidden_global_offset_z
      - .offset:         104
        .size:           2
        .value_kind:     hidden_grid_dims
    .group_segment_fixed_size: 0
    .kernarg_segment_align: 8
    .kernarg_segment_size: 296
    .language:       OpenCL C
    .language_version:
      - 2
      - 0
    .max_flat_workgroup_size: 1024
    .name:           _ZN9rocsolver6v33100L8set_zeroI19rocblas_complex_numIfEPKPS3_EEviiT0_iil13rocblas_fill_
    .private_segment_fixed_size: 0
    .sgpr_count:     13
    .sgpr_spill_count: 0
    .symbol:         _ZN9rocsolver6v33100L8set_zeroI19rocblas_complex_numIfEPKPS3_EEviiT0_iil13rocblas_fill_.kd
    .uniform_work_group_size: 1
    .uses_dynamic_stack: false
    .vgpr_count:     3
    .vgpr_spill_count: 0
    .wavefront_size: 32
  - .args:
      - .offset:         0
        .size:           4
        .value_kind:     by_value
      - .offset:         4
        .size:           4
        .value_kind:     by_value
      - .address_space:  global
        .offset:         8
        .size:           8
        .value_kind:     global_buffer
      - .offset:         16
        .size:           8
        .value_kind:     by_value
      - .offset:         24
        .size:           4
        .value_kind:     by_value
      - .offset:         32
        .size:           8
        .value_kind:     by_value
      - .address_space:  global
        .offset:         40
        .size:           8
        .value_kind:     global_buffer
      - .offset:         48
        .size:           8
        .value_kind:     by_value
      - .address_space:  global
        .offset:         56
        .size:           8
        .value_kind:     global_buffer
      - .offset:         64
        .size:           8
        .value_kind:     by_value
    .group_segment_fixed_size: 0
    .kernarg_segment_align: 8
    .kernarg_segment_size: 72
    .language:       OpenCL C
    .language_version:
      - 2
      - 0
    .max_flat_workgroup_size: 256
    .name:           _ZN9rocsolver6v33100L18geqr2_kernel_smallILi256E19rocblas_complex_numIfEifPKPS3_EEvT1_S7_T3_lS7_lPT2_lPT0_l
    .private_segment_fixed_size: 0
    .sgpr_count:     39
    .sgpr_spill_count: 0
    .symbol:         _ZN9rocsolver6v33100L18geqr2_kernel_smallILi256E19rocblas_complex_numIfEifPKPS3_EEvT1_S7_T3_lS7_lPT2_lPT0_l.kd
    .uniform_work_group_size: 1
    .uses_dynamic_stack: false
    .vgpr_count:     44
    .vgpr_spill_count: 0
    .wavefront_size: 32
  - .args:
      - .address_space:  global
        .offset:         0
        .size:           8
        .value_kind:     global_buffer
      - .offset:         8
        .size:           8
        .value_kind:     by_value
      - .offset:         16
        .size:           4
        .value_kind:     by_value
      - .offset:         20
        .size:           4
        .value_kind:     by_value
      - .offset:         24
        .size:           4
        .value_kind:     hidden_block_count_x
      - .offset:         28
        .size:           4
        .value_kind:     hidden_block_count_y
      - .offset:         32
        .size:           4
        .value_kind:     hidden_block_count_z
      - .offset:         36
        .size:           2
        .value_kind:     hidden_group_size_x
      - .offset:         38
        .size:           2
        .value_kind:     hidden_group_size_y
      - .offset:         40
        .size:           2
        .value_kind:     hidden_group_size_z
      - .offset:         42
        .size:           2
        .value_kind:     hidden_remainder_x
      - .offset:         44
        .size:           2
        .value_kind:     hidden_remainder_y
      - .offset:         46
        .size:           2
        .value_kind:     hidden_remainder_z
      - .offset:         64
        .size:           8
        .value_kind:     hidden_global_offset_x
      - .offset:         72
        .size:           8
        .value_kind:     hidden_global_offset_y
      - .offset:         80
        .size:           8
        .value_kind:     hidden_global_offset_z
      - .offset:         88
        .size:           2
        .value_kind:     hidden_grid_dims
    .group_segment_fixed_size: 0
    .kernarg_segment_align: 8
    .kernarg_segment_size: 280
    .language:       OpenCL C
    .language_version:
      - 2
      - 0
    .max_flat_workgroup_size: 1024
    .name:           _ZN9rocsolver6v33100L16reset_batch_infoI19rocblas_complex_numIfEiiPS3_EEvT2_lT0_T1_
    .private_segment_fixed_size: 0
    .sgpr_count:     14
    .sgpr_spill_count: 0
    .symbol:         _ZN9rocsolver6v33100L16reset_batch_infoI19rocblas_complex_numIfEiiPS3_EEvT2_lT0_T1_.kd
    .uniform_work_group_size: 1
    .uses_dynamic_stack: false
    .vgpr_count:     4
    .vgpr_spill_count: 0
    .wavefront_size: 32
  - .args:
      - .address_space:  global
        .offset:         0
        .size:           8
        .value_kind:     global_buffer
      - .offset:         8
        .size:           8
        .value_kind:     by_value
      - .offset:         16
        .size:           8
        .value_kind:     by_value
      - .address_space:  global
        .offset:         24
        .size:           8
        .value_kind:     global_buffer
      - .offset:         32
        .size:           8
        .value_kind:     by_value
      - .offset:         40
        .size:           4
        .value_kind:     by_value
      - .offset:         48
        .size:           8
        .value_kind:     by_value
      - .offset:         56
        .size:           4
        .value_kind:     by_value
      - .offset:         60
        .size:           1
        .value_kind:     by_value
      - .offset:         64
        .size:           4
        .value_kind:     hidden_block_count_x
      - .offset:         68
        .size:           4
        .value_kind:     hidden_block_count_y
      - .offset:         72
        .size:           4
        .value_kind:     hidden_block_count_z
      - .offset:         76
        .size:           2
        .value_kind:     hidden_group_size_x
      - .offset:         78
        .size:           2
        .value_kind:     hidden_group_size_y
      - .offset:         80
        .size:           2
        .value_kind:     hidden_group_size_z
      - .offset:         82
        .size:           2
        .value_kind:     hidden_remainder_x
      - .offset:         84
        .size:           2
        .value_kind:     hidden_remainder_y
      - .offset:         86
        .size:           2
        .value_kind:     hidden_remainder_z
      - .offset:         104
        .size:           8
        .value_kind:     hidden_global_offset_x
      - .offset:         112
        .size:           8
        .value_kind:     hidden_global_offset_y
      - .offset:         120
        .size:           8
        .value_kind:     hidden_global_offset_z
      - .offset:         128
        .size:           2
        .value_kind:     hidden_grid_dims
    .group_segment_fixed_size: 0
    .kernarg_segment_align: 8
    .kernarg_segment_size: 320
    .language:       OpenCL C
    .language_version:
      - 2
      - 0
    .max_flat_workgroup_size: 1024
    .name:           _ZN9rocsolver6v33100L8set_diagI19rocblas_complex_numIfEifPKPS3_TnNSt9enable_ifIXaa18rocblas_is_complexIT_Ent18rocblas_is_complexIT1_EEiE4typeELi0EEEvPS9_llT2_lT0_lSE_b
    .private_segment_fixed_size: 0
    .sgpr_count:     19
    .sgpr_spill_count: 0
    .symbol:         _ZN9rocsolver6v33100L8set_diagI19rocblas_complex_numIfEifPKPS3_TnNSt9enable_ifIXaa18rocblas_is_complexIT_Ent18rocblas_is_complexIT1_EEiE4typeELi0EEEvPS9_llT2_lT0_lSE_b.kd
    .uniform_work_group_size: 1
    .uses_dynamic_stack: false
    .vgpr_count:     4
    .vgpr_spill_count: 0
    .wavefront_size: 32
  - .args:
      - .address_space:  global
        .offset:         0
        .size:           8
        .value_kind:     global_buffer
      - .offset:         8
        .size:           8
        .value_kind:     by_value
      - .address_space:  global
        .offset:         16
        .size:           8
        .value_kind:     global_buffer
      - .address_space:  global
        .offset:         24
        .size:           8
        .value_kind:     global_buffer
      - .offset:         32
        .size:           8
        .value_kind:     by_value
      - .offset:         40
        .size:           8
        .value_kind:     by_value
      - .address_space:  global
        .offset:         48
        .size:           8
        .value_kind:     global_buffer
      - .offset:         56
        .size:           8
        .value_kind:     by_value
      - .offset:         64
        .size:           8
        .value_kind:     by_value
    .group_segment_fixed_size: 0
    .kernarg_segment_align: 8
    .kernarg_segment_size: 72
    .language:       OpenCL C
    .language_version:
      - 2
      - 0
    .max_flat_workgroup_size: 1024
    .name:           _ZN9rocsolver6v33100L11set_taubetaI19rocblas_complex_numIfEifPKPS3_EEvPT_lS8_T2_llPT1_ll
    .private_segment_fixed_size: 0
    .sgpr_count:     25
    .sgpr_spill_count: 0
    .symbol:         _ZN9rocsolver6v33100L11set_taubetaI19rocblas_complex_numIfEifPKPS3_EEvPT_lS8_T2_llPT1_ll.kd
    .uniform_work_group_size: 1
    .uses_dynamic_stack: false
    .vgpr_count:     26
    .vgpr_spill_count: 0
    .wavefront_size: 32
  - .args:
      - .offset:         0
        .size:           4
        .value_kind:     by_value
      - .offset:         4
        .size:           4
        .value_kind:     by_value
      - .address_space:  global
        .offset:         8
        .size:           8
        .value_kind:     global_buffer
      - .offset:         16
        .size:           8
        .value_kind:     by_value
      - .offset:         24
        .size:           4
        .value_kind:     by_value
      - .offset:         32
        .size:           8
        .value_kind:     by_value
      - .offset:         40
        .size:           4
        .value_kind:     hidden_block_count_x
      - .offset:         44
        .size:           4
        .value_kind:     hidden_block_count_y
      - .offset:         48
        .size:           4
        .value_kind:     hidden_block_count_z
      - .offset:         52
        .size:           2
        .value_kind:     hidden_group_size_x
      - .offset:         54
        .size:           2
        .value_kind:     hidden_group_size_y
      - .offset:         56
        .size:           2
        .value_kind:     hidden_group_size_z
      - .offset:         58
        .size:           2
        .value_kind:     hidden_remainder_x
      - .offset:         60
        .size:           2
        .value_kind:     hidden_remainder_y
      - .offset:         62
        .size:           2
        .value_kind:     hidden_remainder_z
      - .offset:         80
        .size:           8
        .value_kind:     hidden_global_offset_x
      - .offset:         88
        .size:           8
        .value_kind:     hidden_global_offset_y
      - .offset:         96
        .size:           8
        .value_kind:     hidden_global_offset_z
      - .offset:         104
        .size:           2
        .value_kind:     hidden_grid_dims
    .group_segment_fixed_size: 0
    .kernarg_segment_align: 8
    .kernarg_segment_size: 296
    .language:       OpenCL C
    .language_version:
      - 2
      - 0
    .max_flat_workgroup_size: 1024
    .name:           _ZN9rocsolver6v33100L13conj_in_placeI19rocblas_complex_numIfEiPS3_TnNSt9enable_ifIX18rocblas_is_complexIT_EEiE4typeELi0EEEvT0_S9_T1_lS9_l
    .private_segment_fixed_size: 0
    .sgpr_count:     16
    .sgpr_spill_count: 0
    .symbol:         _ZN9rocsolver6v33100L13conj_in_placeI19rocblas_complex_numIfEiPS3_TnNSt9enable_ifIX18rocblas_is_complexIT_EEiE4typeELi0EEEvT0_S9_T1_lS9_l.kd
    .uniform_work_group_size: 1
    .uses_dynamic_stack: false
    .vgpr_count:     6
    .vgpr_spill_count: 0
    .wavefront_size: 32
  - .args:
      - .offset:         0
        .size:           4
        .value_kind:     by_value
      - .offset:         4
        .size:           4
        .value_kind:     by_value
      - .address_space:  global
        .offset:         8
        .size:           8
        .value_kind:     global_buffer
      - .offset:         16
        .size:           8
        .value_kind:     by_value
      - .offset:         24
        .size:           4
        .value_kind:     by_value
      - .offset:         32
        .size:           8
        .value_kind:     by_value
      - .address_space:  global
        .offset:         40
        .size:           8
        .value_kind:     global_buffer
      - .offset:         48
        .size:           8
        .value_kind:     by_value
      - .address_space:  global
        .offset:         56
        .size:           8
        .value_kind:     global_buffer
      - .offset:         64
        .size:           8
        .value_kind:     by_value
      - .offset:         72
        .size:           4
        .value_kind:     by_value
      - .offset:         80
        .size:           8
        .value_kind:     by_value
    .group_segment_fixed_size: 0
    .kernarg_segment_align: 8
    .kernarg_segment_size: 88
    .language:       OpenCL C
    .language_version:
      - 2
      - 0
    .max_flat_workgroup_size: 1024
    .name:           _ZN9rocsolver6v33100L16larf_left_kernelILi1024E19rocblas_complex_numIfEiPKPS3_EEvT1_S7_T2_lS7_lPKT0_lS8_lS7_l
    .private_segment_fixed_size: 0
    .sgpr_count:     26
    .sgpr_spill_count: 0
    .symbol:         _ZN9rocsolver6v33100L16larf_left_kernelILi1024E19rocblas_complex_numIfEiPKPS3_EEvT1_S7_T2_lS7_lPKT0_lS8_lS7_l.kd
    .uniform_work_group_size: 1
    .uses_dynamic_stack: false
    .vgpr_count:     18
    .vgpr_spill_count: 0
    .wavefront_size: 32
  - .args:
      - .offset:         0
        .size:           4
        .value_kind:     by_value
      - .offset:         4
        .size:           4
        .value_kind:     by_value
      - .address_space:  global
        .offset:         8
        .size:           8
        .value_kind:     global_buffer
      - .offset:         16
        .size:           8
        .value_kind:     by_value
      - .offset:         24
        .size:           4
        .value_kind:     by_value
      - .offset:         32
        .size:           8
        .value_kind:     by_value
      - .address_space:  global
        .offset:         40
        .size:           8
        .value_kind:     global_buffer
      - .offset:         48
        .size:           8
        .value_kind:     by_value
      - .address_space:  global
        .offset:         56
        .size:           8
        .value_kind:     global_buffer
      - .offset:         64
        .size:           8
        .value_kind:     by_value
      - .offset:         72
        .size:           4
        .value_kind:     by_value
      - .offset:         80
        .size:           8
        .value_kind:     by_value
    .group_segment_fixed_size: 0
    .kernarg_segment_align: 8
    .kernarg_segment_size: 88
    .language:       OpenCL C
    .language_version:
      - 2
      - 0
    .max_flat_workgroup_size: 1024
    .name:           _ZN9rocsolver6v33100L17larf_right_kernelILi1024E19rocblas_complex_numIfEiPKPS3_EEvT1_S7_T2_lS7_lPKT0_lS8_lS7_l
    .private_segment_fixed_size: 0
    .sgpr_count:     26
    .sgpr_spill_count: 0
    .symbol:         _ZN9rocsolver6v33100L17larf_right_kernelILi1024E19rocblas_complex_numIfEiPKPS3_EEvT1_S7_T2_lS7_lPKT0_lS8_lS7_l.kd
    .uniform_work_group_size: 1
    .uses_dynamic_stack: false
    .vgpr_count:     20
    .vgpr_spill_count: 0
    .wavefront_size: 32
  - .args:
      - .address_space:  global
        .offset:         0
        .size:           8
        .value_kind:     global_buffer
      - .address_space:  global
        .offset:         8
        .size:           8
        .value_kind:     global_buffer
      - .offset:         16
        .size:           8
        .value_kind:     by_value
      - .offset:         24
        .size:           4
        .value_kind:     by_value
      - .offset:         32
        .size:           4
        .value_kind:     hidden_block_count_x
      - .offset:         36
        .size:           4
        .value_kind:     hidden_block_count_y
      - .offset:         40
        .size:           4
        .value_kind:     hidden_block_count_z
      - .offset:         44
        .size:           2
        .value_kind:     hidden_group_size_x
      - .offset:         46
        .size:           2
        .value_kind:     hidden_group_size_y
      - .offset:         48
        .size:           2
        .value_kind:     hidden_group_size_z
      - .offset:         50
        .size:           2
        .value_kind:     hidden_remainder_x
      - .offset:         52
        .size:           2
        .value_kind:     hidden_remainder_y
      - .offset:         54
        .size:           2
        .value_kind:     hidden_remainder_z
      - .offset:         72
        .size:           8
        .value_kind:     hidden_global_offset_x
      - .offset:         80
        .size:           8
        .value_kind:     hidden_global_offset_y
      - .offset:         88
        .size:           8
        .value_kind:     hidden_global_offset_z
      - .offset:         96
        .size:           2
        .value_kind:     hidden_grid_dims
    .group_segment_fixed_size: 0
    .kernarg_segment_align: 8
    .kernarg_segment_size: 288
    .language:       OpenCL C
    .language_version:
      - 2
      - 0
    .max_flat_workgroup_size: 1024
    .name:           _ZN9rocsolver6v33100L9get_arrayI19rocblas_complex_numIfEiEEvPPT_S5_lT0_
    .private_segment_fixed_size: 0
    .sgpr_count:     7
    .sgpr_spill_count: 0
    .symbol:         _ZN9rocsolver6v33100L9get_arrayI19rocblas_complex_numIfEiEEvPPT_S5_lT0_.kd
    .uniform_work_group_size: 1
    .uses_dynamic_stack: false
    .vgpr_count:     4
    .vgpr_spill_count: 0
    .wavefront_size: 32
  - .args:
      - .address_space:  global
        .offset:         0
        .size:           8
        .value_kind:     global_buffer
      - .offset:         8
        .size:           8
        .value_kind:     by_value
      - .offset:         16
        .size:           8
        .value_kind:     by_value
      - .address_space:  global
        .offset:         24
        .size:           8
        .value_kind:     global_buffer
      - .offset:         32
        .size:           8
        .value_kind:     by_value
      - .offset:         40
        .size:           4
        .value_kind:     by_value
      - .offset:         48
        .size:           8
        .value_kind:     by_value
      - .offset:         56
        .size:           4
        .value_kind:     by_value
      - .offset:         64
        .size:           4
        .value_kind:     hidden_block_count_x
      - .offset:         68
        .size:           4
        .value_kind:     hidden_block_count_y
      - .offset:         72
        .size:           4
        .value_kind:     hidden_block_count_z
      - .offset:         76
        .size:           2
        .value_kind:     hidden_group_size_x
      - .offset:         78
        .size:           2
        .value_kind:     hidden_group_size_y
      - .offset:         80
        .size:           2
        .value_kind:     hidden_group_size_z
      - .offset:         82
        .size:           2
        .value_kind:     hidden_remainder_x
      - .offset:         84
        .size:           2
        .value_kind:     hidden_remainder_y
      - .offset:         86
        .size:           2
        .value_kind:     hidden_remainder_z
      - .offset:         104
        .size:           8
        .value_kind:     hidden_global_offset_x
      - .offset:         112
        .size:           8
        .value_kind:     hidden_global_offset_y
      - .offset:         120
        .size:           8
        .value_kind:     hidden_global_offset_z
      - .offset:         128
        .size:           2
        .value_kind:     hidden_grid_dims
    .group_segment_fixed_size: 0
    .kernarg_segment_align: 8
    .kernarg_segment_size: 320
    .language:       OpenCL C
    .language_version:
      - 2
      - 0
    .max_flat_workgroup_size: 1024
    .name:           _ZN9rocsolver6v33100L12restore_diagI19rocblas_complex_numIfEifPKPS3_EEvPT1_llT2_lT0_lSA_
    .private_segment_fixed_size: 0
    .sgpr_count:     14
    .sgpr_spill_count: 0
    .symbol:         _ZN9rocsolver6v33100L12restore_diagI19rocblas_complex_numIfEifPKPS3_EEvPT1_llT2_lT0_lSA_.kd
    .uniform_work_group_size: 1
    .uses_dynamic_stack: false
    .vgpr_count:     4
    .vgpr_spill_count: 0
    .wavefront_size: 32
  - .args:
      - .offset:         0
        .size:           4
        .value_kind:     by_value
      - .offset:         4
        .size:           4
        .value_kind:     by_value
      - .address_space:  global
        .offset:         8
        .size:           8
        .value_kind:     global_buffer
      - .offset:         16
        .size:           4
        .value_kind:     by_value
      - .offset:         20
        .size:           4
        .value_kind:     by_value
      - .offset:         24
        .size:           8
        .value_kind:     by_value
      - .address_space:  global
        .offset:         32
        .size:           8
        .value_kind:     global_buffer
      - .offset:         40
        .size:           8
        .value_kind:     by_value
      - .address_space:  global
        .offset:         48
        .size:           8
        .value_kind:     global_buffer
      - .offset:         56
        .size:           4
        .value_kind:     by_value
      - .offset:         64
        .size:           8
        .value_kind:     by_value
      - .offset:         72
        .size:           4
        .value_kind:     by_value
      - .offset:         76
        .size:           4
        .value_kind:     by_value
      - .offset:         80
        .size:           1
        .value_kind:     by_value
      - .offset:         88
        .size:           4
        .value_kind:     hidden_block_count_x
      - .offset:         92
        .size:           4
        .value_kind:     hidden_block_count_y
      - .offset:         96
        .size:           4
        .value_kind:     hidden_block_count_z
      - .offset:         100
        .size:           2
        .value_kind:     hidden_group_size_x
      - .offset:         102
        .size:           2
        .value_kind:     hidden_group_size_y
      - .offset:         104
        .size:           2
        .value_kind:     hidden_group_size_z
      - .offset:         106
        .size:           2
        .value_kind:     hidden_remainder_x
      - .offset:         108
        .size:           2
        .value_kind:     hidden_remainder_y
      - .offset:         110
        .size:           2
        .value_kind:     hidden_remainder_z
      - .offset:         128
        .size:           8
        .value_kind:     hidden_global_offset_x
      - .offset:         136
        .size:           8
        .value_kind:     hidden_global_offset_y
      - .offset:         144
        .size:           8
        .value_kind:     hidden_global_offset_z
      - .offset:         152
        .size:           2
        .value_kind:     hidden_grid_dims
    .group_segment_fixed_size: 0
    .kernarg_segment_align: 8
    .kernarg_segment_size: 344
    .language:       OpenCL C
    .language_version:
      - 2
      - 0
    .max_flat_workgroup_size: 1024
    .name:           _ZN9rocsolver6v33100L14set_triangularI19rocblas_complex_numIfEPKPS3_TnNSt9enable_ifIX18rocblas_is_complexIT_EEiE4typeELi0EEEviiT0_iilPS8_lSC_il15rocblas_direct_15rocblas_storev_b
    .private_segment_fixed_size: 0
    .sgpr_count:     24
    .sgpr_spill_count: 0
    .symbol:         _ZN9rocsolver6v33100L14set_triangularI19rocblas_complex_numIfEPKPS3_TnNSt9enable_ifIX18rocblas_is_complexIT_EEiE4typeELi0EEEviiT0_iilPS8_lSC_il15rocblas_direct_15rocblas_storev_b.kd
    .uniform_work_group_size: 1
    .uses_dynamic_stack: false
    .vgpr_count:     14
    .vgpr_spill_count: 0
    .wavefront_size: 32
  - .args:
      - .offset:         0
        .size:           4
        .value_kind:     by_value
      - .address_space:  global
        .offset:         8
        .size:           8
        .value_kind:     global_buffer
      - .offset:         16
        .size:           8
        .value_kind:     by_value
      - .offset:         24
        .size:           4
        .value_kind:     hidden_block_count_x
      - .offset:         28
        .size:           4
        .value_kind:     hidden_block_count_y
      - .offset:         32
        .size:           4
        .value_kind:     hidden_block_count_z
      - .offset:         36
        .size:           2
        .value_kind:     hidden_group_size_x
      - .offset:         38
        .size:           2
        .value_kind:     hidden_group_size_y
      - .offset:         40
        .size:           2
        .value_kind:     hidden_group_size_z
      - .offset:         42
        .size:           2
        .value_kind:     hidden_remainder_x
      - .offset:         44
        .size:           2
        .value_kind:     hidden_remainder_y
      - .offset:         46
        .size:           2
        .value_kind:     hidden_remainder_z
      - .offset:         64
        .size:           8
        .value_kind:     hidden_global_offset_x
      - .offset:         72
        .size:           8
        .value_kind:     hidden_global_offset_y
      - .offset:         80
        .size:           8
        .value_kind:     hidden_global_offset_z
      - .offset:         88
        .size:           2
        .value_kind:     hidden_grid_dims
    .group_segment_fixed_size: 0
    .kernarg_segment_align: 8
    .kernarg_segment_size: 280
    .language:       OpenCL C
    .language_version:
      - 2
      - 0
    .max_flat_workgroup_size: 1024
    .name:           _ZN9rocsolver6v33100L7set_tauI19rocblas_complex_numIfEEEviPT_l
    .private_segment_fixed_size: 0
    .sgpr_count:     10
    .sgpr_spill_count: 0
    .symbol:         _ZN9rocsolver6v33100L7set_tauI19rocblas_complex_numIfEEEviPT_l.kd
    .uniform_work_group_size: 1
    .uses_dynamic_stack: false
    .vgpr_count:     4
    .vgpr_spill_count: 0
    .wavefront_size: 32
  - .args:
      - .offset:         0
        .size:           4
        .value_kind:     by_value
      - .offset:         4
        .size:           4
        .value_kind:     by_value
      - .offset:         8
        .size:           4
        .value_kind:     by_value
      - .address_space:  global
        .offset:         16
        .size:           8
        .value_kind:     global_buffer
      - .offset:         24
        .size:           4
        .value_kind:     by_value
      - .offset:         28
        .size:           4
        .value_kind:     by_value
      - .offset:         32
        .size:           8
        .value_kind:     by_value
      - .address_space:  global
        .offset:         40
        .size:           8
        .value_kind:     global_buffer
      - .offset:         48
        .size:           8
        .value_kind:     by_value
      - .address_space:  global
        .offset:         56
        .size:           8
        .value_kind:     global_buffer
      - .offset:         64
        .size:           4
        .value_kind:     by_value
      - .offset:         72
        .size:           8
        .value_kind:     by_value
      - .offset:         80
        .size:           4
        .value_kind:     hidden_block_count_x
      - .offset:         84
        .size:           4
        .value_kind:     hidden_block_count_y
      - .offset:         88
        .size:           4
        .value_kind:     hidden_block_count_z
      - .offset:         92
        .size:           2
        .value_kind:     hidden_group_size_x
      - .offset:         94
        .size:           2
        .value_kind:     hidden_group_size_y
      - .offset:         96
        .size:           2
        .value_kind:     hidden_group_size_z
      - .offset:         98
        .size:           2
        .value_kind:     hidden_remainder_x
      - .offset:         100
        .size:           2
        .value_kind:     hidden_remainder_y
      - .offset:         102
        .size:           2
        .value_kind:     hidden_remainder_z
      - .offset:         120
        .size:           8
        .value_kind:     hidden_global_offset_x
      - .offset:         128
        .size:           8
        .value_kind:     hidden_global_offset_y
      - .offset:         136
        .size:           8
        .value_kind:     hidden_global_offset_z
      - .offset:         144
        .size:           2
        .value_kind:     hidden_grid_dims
      - .offset:         200
        .size:           4
        .value_kind:     hidden_dynamic_lds_size
    .group_segment_fixed_size: 0
    .kernarg_segment_align: 8
    .kernarg_segment_size: 336
    .language:       OpenCL C
    .language_version:
      - 2
      - 0
    .max_flat_workgroup_size: 1024
    .name:           _ZN9rocsolver6v33100L20larft_kernel_forwardI19rocblas_complex_numIfEPKPS3_EEv15rocblas_storev_iiT0_iilPT_lSA_il
    .private_segment_fixed_size: 0
    .sgpr_count:     48
    .sgpr_spill_count: 0
    .symbol:         _ZN9rocsolver6v33100L20larft_kernel_forwardI19rocblas_complex_numIfEPKPS3_EEv15rocblas_storev_iiT0_iilPT_lSA_il.kd
    .uniform_work_group_size: 1
    .uses_dynamic_stack: false
    .vgpr_count:     26
    .vgpr_spill_count: 0
    .wavefront_size: 32
  - .args:
      - .offset:         0
        .size:           4
        .value_kind:     by_value
      - .offset:         4
        .size:           4
        .value_kind:     by_value
      - .address_space:  global
        .offset:         8
        .size:           8
        .value_kind:     global_buffer
      - .offset:         16
        .size:           8
        .value_kind:     by_value
      - .offset:         24
        .size:           4
        .value_kind:     by_value
      - .offset:         32
        .size:           8
        .value_kind:     by_value
      - .offset:         40
        .size:           4
        .value_kind:     hidden_block_count_x
      - .offset:         44
        .size:           4
        .value_kind:     hidden_block_count_y
      - .offset:         48
        .size:           4
        .value_kind:     hidden_block_count_z
      - .offset:         52
        .size:           2
        .value_kind:     hidden_group_size_x
      - .offset:         54
        .size:           2
        .value_kind:     hidden_group_size_y
      - .offset:         56
        .size:           2
        .value_kind:     hidden_group_size_z
      - .offset:         58
        .size:           2
        .value_kind:     hidden_remainder_x
      - .offset:         60
        .size:           2
        .value_kind:     hidden_remainder_y
      - .offset:         62
        .size:           2
        .value_kind:     hidden_remainder_z
      - .offset:         80
        .size:           8
        .value_kind:     hidden_global_offset_x
      - .offset:         88
        .size:           8
        .value_kind:     hidden_global_offset_y
      - .offset:         96
        .size:           8
        .value_kind:     hidden_global_offset_z
      - .offset:         104
        .size:           2
        .value_kind:     hidden_grid_dims
    .group_segment_fixed_size: 0
    .kernarg_segment_align: 8
    .kernarg_segment_size: 296
    .language:       OpenCL C
    .language_version:
      - 2
      - 0
    .max_flat_workgroup_size: 1024
    .name:           _ZN9rocsolver6v33100L13conj_in_placeI19rocblas_complex_numIfEiPKPS3_TnNSt9enable_ifIX18rocblas_is_complexIT_EEiE4typeELi0EEEvT0_SB_T1_lSB_l
    .private_segment_fixed_size: 0
    .sgpr_count:     13
    .sgpr_spill_count: 0
    .symbol:         _ZN9rocsolver6v33100L13conj_in_placeI19rocblas_complex_numIfEiPKPS3_TnNSt9enable_ifIX18rocblas_is_complexIT_EEiE4typeELi0EEEvT0_SB_T1_lSB_l.kd
    .uniform_work_group_size: 1
    .uses_dynamic_stack: false
    .vgpr_count:     6
    .vgpr_spill_count: 0
    .wavefront_size: 32
  - .args:
      - .offset:         0
        .size:           4
        .value_kind:     by_value
      - .offset:         4
        .size:           4
        .value_kind:     by_value
      - .offset:         8
        .size:           4
        .value_kind:     by_value
      - .address_space:  global
        .offset:         16
        .size:           8
        .value_kind:     global_buffer
      - .offset:         24
        .size:           4
        .value_kind:     by_value
      - .offset:         28
        .size:           4
        .value_kind:     by_value
      - .offset:         32
        .size:           8
        .value_kind:     by_value
      - .address_space:  global
        .offset:         40
        .size:           8
        .value_kind:     global_buffer
      - .offset:         48
        .size:           8
        .value_kind:     by_value
      - .address_space:  global
        .offset:         56
        .size:           8
        .value_kind:     global_buffer
      - .offset:         64
        .size:           4
        .value_kind:     by_value
      - .offset:         72
        .size:           8
        .value_kind:     by_value
      - .offset:         80
        .size:           4
        .value_kind:     hidden_block_count_x
      - .offset:         84
        .size:           4
        .value_kind:     hidden_block_count_y
      - .offset:         88
        .size:           4
        .value_kind:     hidden_block_count_z
      - .offset:         92
        .size:           2
        .value_kind:     hidden_group_size_x
      - .offset:         94
        .size:           2
        .value_kind:     hidden_group_size_y
      - .offset:         96
        .size:           2
        .value_kind:     hidden_group_size_z
      - .offset:         98
        .size:           2
        .value_kind:     hidden_remainder_x
      - .offset:         100
        .size:           2
        .value_kind:     hidden_remainder_y
      - .offset:         102
        .size:           2
        .value_kind:     hidden_remainder_z
      - .offset:         120
        .size:           8
        .value_kind:     hidden_global_offset_x
      - .offset:         128
        .size:           8
        .value_kind:     hidden_global_offset_y
      - .offset:         136
        .size:           8
        .value_kind:     hidden_global_offset_z
      - .offset:         144
        .size:           2
        .value_kind:     hidden_grid_dims
      - .offset:         200
        .size:           4
        .value_kind:     hidden_dynamic_lds_size
    .group_segment_fixed_size: 0
    .kernarg_segment_align: 8
    .kernarg_segment_size: 336
    .language:       OpenCL C
    .language_version:
      - 2
      - 0
    .max_flat_workgroup_size: 1024
    .name:           _ZN9rocsolver6v33100L21larft_kernel_backwardI19rocblas_complex_numIfEPKPS3_EEv15rocblas_storev_iiT0_iilPT_lSA_il
    .private_segment_fixed_size: 0
    .sgpr_count:     48
    .sgpr_spill_count: 0
    .symbol:         _ZN9rocsolver6v33100L21larft_kernel_backwardI19rocblas_complex_numIfEPKPS3_EEv15rocblas_storev_iiT0_iilPT_lSA_il.kd
    .uniform_work_group_size: 1
    .uses_dynamic_stack: false
    .vgpr_count:     24
    .vgpr_spill_count: 0
    .wavefront_size: 32
  - .args:
      - .offset:         0
        .size:           4
        .value_kind:     by_value
      - .offset:         4
        .size:           4
        .value_kind:     by_value
      - .address_space:  global
        .offset:         8
        .size:           8
        .value_kind:     global_buffer
      - .offset:         16
        .size:           4
        .value_kind:     by_value
      - .offset:         20
        .size:           4
        .value_kind:     by_value
      - .offset:         24
        .size:           8
        .value_kind:     by_value
      - .address_space:  global
        .offset:         32
        .size:           8
        .value_kind:     global_buffer
      - .offset:         40
        .size:           4
        .value_kind:     hidden_block_count_x
      - .offset:         44
        .size:           4
        .value_kind:     hidden_block_count_y
      - .offset:         48
        .size:           4
        .value_kind:     hidden_block_count_z
      - .offset:         52
        .size:           2
        .value_kind:     hidden_group_size_x
      - .offset:         54
        .size:           2
        .value_kind:     hidden_group_size_y
      - .offset:         56
        .size:           2
        .value_kind:     hidden_group_size_z
      - .offset:         58
        .size:           2
        .value_kind:     hidden_remainder_x
      - .offset:         60
        .size:           2
        .value_kind:     hidden_remainder_y
      - .offset:         62
        .size:           2
        .value_kind:     hidden_remainder_z
      - .offset:         80
        .size:           8
        .value_kind:     hidden_global_offset_x
      - .offset:         88
        .size:           8
        .value_kind:     hidden_global_offset_y
      - .offset:         96
        .size:           8
        .value_kind:     hidden_global_offset_z
      - .offset:         104
        .size:           2
        .value_kind:     hidden_grid_dims
    .group_segment_fixed_size: 0
    .kernarg_segment_align: 8
    .kernarg_segment_size: 296
    .language:       OpenCL C
    .language_version:
      - 2
      - 0
    .max_flat_workgroup_size: 1024
    .name:           _ZN9rocsolver6v33100L9copymatA1I19rocblas_complex_numIfEPKPS3_EEviiT0_iilPT_
    .private_segment_fixed_size: 0
    .sgpr_count:     20
    .sgpr_spill_count: 0
    .symbol:         _ZN9rocsolver6v33100L9copymatA1I19rocblas_complex_numIfEPKPS3_EEviiT0_iilPT_.kd
    .uniform_work_group_size: 1
    .uses_dynamic_stack: false
    .vgpr_count:     4
    .vgpr_spill_count: 0
    .wavefront_size: 32
  - .args:
      - .offset:         0
        .size:           4
        .value_kind:     by_value
      - .offset:         4
        .size:           4
        .value_kind:     by_value
      - .address_space:  global
        .offset:         8
        .size:           8
        .value_kind:     global_buffer
      - .offset:         16
        .size:           4
        .value_kind:     by_value
      - .offset:         20
        .size:           4
        .value_kind:     by_value
      - .offset:         24
        .size:           8
        .value_kind:     by_value
      - .address_space:  global
        .offset:         32
        .size:           8
        .value_kind:     global_buffer
      - .offset:         40
        .size:           4
        .value_kind:     hidden_block_count_x
      - .offset:         44
        .size:           4
        .value_kind:     hidden_block_count_y
      - .offset:         48
        .size:           4
        .value_kind:     hidden_block_count_z
      - .offset:         52
        .size:           2
        .value_kind:     hidden_group_size_x
      - .offset:         54
        .size:           2
        .value_kind:     hidden_group_size_y
      - .offset:         56
        .size:           2
        .value_kind:     hidden_group_size_z
      - .offset:         58
        .size:           2
        .value_kind:     hidden_remainder_x
      - .offset:         60
        .size:           2
        .value_kind:     hidden_remainder_y
      - .offset:         62
        .size:           2
        .value_kind:     hidden_remainder_z
      - .offset:         80
        .size:           8
        .value_kind:     hidden_global_offset_x
      - .offset:         88
        .size:           8
        .value_kind:     hidden_global_offset_y
      - .offset:         96
        .size:           8
        .value_kind:     hidden_global_offset_z
      - .offset:         104
        .size:           2
        .value_kind:     hidden_grid_dims
    .group_segment_fixed_size: 0
    .kernarg_segment_align: 8
    .kernarg_segment_size: 296
    .language:       OpenCL C
    .language_version:
      - 2
      - 0
    .max_flat_workgroup_size: 1024
    .name:           _ZN9rocsolver6v33100L8addmatA1I19rocblas_complex_numIfEPKPS3_EEviiT0_iilPT_
    .private_segment_fixed_size: 0
    .sgpr_count:     20
    .sgpr_spill_count: 0
    .symbol:         _ZN9rocsolver6v33100L8addmatA1I19rocblas_complex_numIfEPKPS3_EEviiT0_iilPT_.kd
    .uniform_work_group_size: 1
    .uses_dynamic_stack: false
    .vgpr_count:     6
    .vgpr_spill_count: 0
    .wavefront_size: 32
  - .args:
      - .address_space:  global
        .offset:         0
        .size:           8
        .value_kind:     global_buffer
      - .offset:         8
        .size:           8
        .value_kind:     by_value
      - .offset:         16
        .size:           8
        .value_kind:     by_value
      - .address_space:  global
        .offset:         24
        .size:           8
        .value_kind:     global_buffer
      - .offset:         32
        .size:           8
        .value_kind:     by_value
      - .offset:         40
        .size:           4
        .value_kind:     by_value
      - .offset:         48
        .size:           8
        .value_kind:     by_value
      - .offset:         56
        .size:           4
        .value_kind:     by_value
      - .offset:         60
        .size:           1
        .value_kind:     by_value
      - .offset:         64
        .size:           4
        .value_kind:     hidden_block_count_x
      - .offset:         68
        .size:           4
        .value_kind:     hidden_block_count_y
      - .offset:         72
        .size:           4
        .value_kind:     hidden_block_count_z
      - .offset:         76
        .size:           2
        .value_kind:     hidden_group_size_x
      - .offset:         78
        .size:           2
        .value_kind:     hidden_group_size_y
      - .offset:         80
        .size:           2
        .value_kind:     hidden_group_size_z
      - .offset:         82
        .size:           2
        .value_kind:     hidden_remainder_x
      - .offset:         84
        .size:           2
        .value_kind:     hidden_remainder_y
      - .offset:         86
        .size:           2
        .value_kind:     hidden_remainder_z
      - .offset:         104
        .size:           8
        .value_kind:     hidden_global_offset_x
      - .offset:         112
        .size:           8
        .value_kind:     hidden_global_offset_y
      - .offset:         120
        .size:           8
        .value_kind:     hidden_global_offset_z
      - .offset:         128
        .size:           2
        .value_kind:     hidden_grid_dims
    .group_segment_fixed_size: 0
    .kernarg_segment_align: 8
    .kernarg_segment_size: 320
    .language:       OpenCL C
    .language_version:
      - 2
      - 0
    .max_flat_workgroup_size: 1024
    .name:           _ZN9rocsolver6v33100L8set_diagI19rocblas_complex_numIfEiS3_PKPS3_TnNSt9enable_ifIXoont18rocblas_is_complexIT_E18rocblas_is_complexIT1_EEiE4typeELi0EEEvPS9_llT2_lT0_lSE_b
    .private_segment_fixed_size: 0
    .sgpr_count:     19
    .sgpr_spill_count: 0
    .symbol:         _ZN9rocsolver6v33100L8set_diagI19rocblas_complex_numIfEiS3_PKPS3_TnNSt9enable_ifIXoont18rocblas_is_complexIT_E18rocblas_is_complexIT1_EEiE4typeELi0EEEvPS9_llT2_lT0_lSE_b.kd
    .uniform_work_group_size: 1
    .uses_dynamic_stack: false
    .vgpr_count:     6
    .vgpr_spill_count: 0
    .wavefront_size: 32
  - .args:
      - .address_space:  global
        .offset:         0
        .size:           8
        .value_kind:     global_buffer
      - .offset:         8
        .size:           8
        .value_kind:     by_value
      - .offset:         16
        .size:           8
        .value_kind:     by_value
      - .address_space:  global
        .offset:         24
        .size:           8
        .value_kind:     global_buffer
      - .offset:         32
        .size:           8
        .value_kind:     by_value
      - .offset:         40
        .size:           4
        .value_kind:     by_value
      - .offset:         48
        .size:           8
        .value_kind:     by_value
      - .offset:         56
        .size:           4
        .value_kind:     by_value
      - .offset:         64
        .size:           4
        .value_kind:     hidden_block_count_x
      - .offset:         68
        .size:           4
        .value_kind:     hidden_block_count_y
      - .offset:         72
        .size:           4
        .value_kind:     hidden_block_count_z
      - .offset:         76
        .size:           2
        .value_kind:     hidden_group_size_x
      - .offset:         78
        .size:           2
        .value_kind:     hidden_group_size_y
      - .offset:         80
        .size:           2
        .value_kind:     hidden_group_size_z
      - .offset:         82
        .size:           2
        .value_kind:     hidden_remainder_x
      - .offset:         84
        .size:           2
        .value_kind:     hidden_remainder_y
      - .offset:         86
        .size:           2
        .value_kind:     hidden_remainder_z
      - .offset:         104
        .size:           8
        .value_kind:     hidden_global_offset_x
      - .offset:         112
        .size:           8
        .value_kind:     hidden_global_offset_y
      - .offset:         120
        .size:           8
        .value_kind:     hidden_global_offset_z
      - .offset:         128
        .size:           2
        .value_kind:     hidden_grid_dims
    .group_segment_fixed_size: 0
    .kernarg_segment_align: 8
    .kernarg_segment_size: 320
    .language:       OpenCL C
    .language_version:
      - 2
      - 0
    .max_flat_workgroup_size: 1024
    .name:           _ZN9rocsolver6v33100L12restore_diagI19rocblas_complex_numIfEiS3_PKPS3_EEvPT1_llT2_lT0_lSA_
    .private_segment_fixed_size: 0
    .sgpr_count:     14
    .sgpr_spill_count: 0
    .symbol:         _ZN9rocsolver6v33100L12restore_diagI19rocblas_complex_numIfEiS3_PKPS3_EEvPT1_llT2_lT0_lSA_.kd
    .uniform_work_group_size: 1
    .uses_dynamic_stack: false
    .vgpr_count:     4
    .vgpr_spill_count: 0
    .wavefront_size: 32
  - .args:
      - .offset:         0
        .size:           4
        .value_kind:     by_value
      - .address_space:  global
        .offset:         8
        .size:           8
        .value_kind:     global_buffer
      - .offset:         16
        .size:           4
        .value_kind:     by_value
      - .offset:         20
        .size:           4
        .value_kind:     by_value
      - .offset:         24
        .size:           8
        .value_kind:     by_value
      - .address_space:  global
        .offset:         32
        .size:           8
        .value_kind:     global_buffer
      - .offset:         40
        .size:           4
        .value_kind:     hidden_block_count_x
      - .offset:         44
        .size:           4
        .value_kind:     hidden_block_count_y
      - .offset:         48
        .size:           4
        .value_kind:     hidden_block_count_z
      - .offset:         52
        .size:           2
        .value_kind:     hidden_group_size_x
      - .offset:         54
        .size:           2
        .value_kind:     hidden_group_size_y
      - .offset:         56
        .size:           2
        .value_kind:     hidden_group_size_z
      - .offset:         58
        .size:           2
        .value_kind:     hidden_remainder_x
      - .offset:         60
        .size:           2
        .value_kind:     hidden_remainder_y
      - .offset:         62
        .size:           2
        .value_kind:     hidden_remainder_z
      - .offset:         80
        .size:           8
        .value_kind:     hidden_global_offset_x
      - .offset:         88
        .size:           8
        .value_kind:     hidden_global_offset_y
      - .offset:         96
        .size:           8
        .value_kind:     hidden_global_offset_z
      - .offset:         104
        .size:           2
        .value_kind:     hidden_grid_dims
    .group_segment_fixed_size: 4
    .kernarg_segment_align: 8
    .kernarg_segment_size: 296
    .language:       OpenCL C
    .language_version:
      - 2
      - 0
    .max_flat_workgroup_size: 1024
    .name:           _ZN9rocsolver6v33100L17check_singularityI19rocblas_complex_numIfEPKPS3_EEviT0_iilPi
    .private_segment_fixed_size: 0
    .sgpr_count:     18
    .sgpr_spill_count: 0
    .symbol:         _ZN9rocsolver6v33100L17check_singularityI19rocblas_complex_numIfEPKPS3_EEviT0_iilPi.kd
    .uniform_work_group_size: 1
    .uses_dynamic_stack: false
    .vgpr_count:     4
    .vgpr_spill_count: 0
    .wavefront_size: 32
  - .args:
      - .offset:         0
        .size:           4
        .value_kind:     by_value
      - .offset:         4
        .size:           4
        .value_kind:     by_value
      - .offset:         8
        .size:           4
        .value_kind:     by_value
      - .address_space:  global
        .offset:         16
        .size:           8
        .value_kind:     global_buffer
      - .offset:         24
        .size:           4
        .value_kind:     by_value
      - .offset:         28
        .size:           4
        .value_kind:     by_value
      - .offset:         32
        .size:           8
        .value_kind:     by_value
      - .address_space:  global
        .offset:         40
        .size:           8
        .value_kind:     global_buffer
      - .offset:         48
        .size:           16
        .value_kind:     by_value
      - .offset:         64
        .size:           4
        .value_kind:     by_value
      - .offset:         68
        .size:           4
        .value_kind:     by_value
      - .offset:         72
        .size:           4
        .value_kind:     hidden_block_count_x
      - .offset:         76
        .size:           4
        .value_kind:     hidden_block_count_y
      - .offset:         80
        .size:           4
        .value_kind:     hidden_block_count_z
      - .offset:         84
        .size:           2
        .value_kind:     hidden_group_size_x
      - .offset:         86
        .size:           2
        .value_kind:     hidden_group_size_y
      - .offset:         88
        .size:           2
        .value_kind:     hidden_group_size_z
      - .offset:         90
        .size:           2
        .value_kind:     hidden_remainder_x
      - .offset:         92
        .size:           2
        .value_kind:     hidden_remainder_y
      - .offset:         94
        .size:           2
        .value_kind:     hidden_remainder_z
      - .offset:         112
        .size:           8
        .value_kind:     hidden_global_offset_x
      - .offset:         120
        .size:           8
        .value_kind:     hidden_global_offset_y
      - .offset:         128
        .size:           8
        .value_kind:     hidden_global_offset_z
      - .offset:         136
        .size:           2
        .value_kind:     hidden_grid_dims
    .group_segment_fixed_size: 0
    .kernarg_segment_align: 8
    .kernarg_segment_size: 328
    .language:       OpenCL C
    .language_version:
      - 2
      - 0
    .max_flat_workgroup_size: 1024
    .name:           _ZN9rocsolver6v33100L8copy_matI19rocblas_complex_numIfEPKPS3_NS0_9info_maskEEEvNS0_17copymat_directionEiiT0_iilPT_T1_13rocblas_fill_17rocblas_diagonal_
    .private_segment_fixed_size: 0
    .sgpr_count:     20
    .sgpr_spill_count: 0
    .symbol:         _ZN9rocsolver6v33100L8copy_matI19rocblas_complex_numIfEPKPS3_NS0_9info_maskEEEvNS0_17copymat_directionEiiT0_iilPT_T1_13rocblas_fill_17rocblas_diagonal_.kd
    .uniform_work_group_size: 1
    .uses_dynamic_stack: false
    .vgpr_count:     6
    .vgpr_spill_count: 0
    .wavefront_size: 32
  - .args:
      - .offset:         0
        .size:           4
        .value_kind:     by_value
      - .offset:         4
        .size:           4
        .value_kind:     by_value
      - .offset:         8
        .size:           4
        .value_kind:     by_value
      - .address_space:  global
        .offset:         16
        .size:           8
        .value_kind:     global_buffer
      - .offset:         24
        .size:           4
        .value_kind:     by_value
      - .offset:         28
        .size:           4
        .value_kind:     by_value
      - .offset:         32
        .size:           8
        .value_kind:     by_value
      - .address_space:  global
        .offset:         40
        .size:           8
        .value_kind:     global_buffer
      - .offset:         48
        .size:           4
        .value_kind:     hidden_block_count_x
      - .offset:         52
        .size:           4
        .value_kind:     hidden_block_count_y
      - .offset:         56
        .size:           4
        .value_kind:     hidden_block_count_z
      - .offset:         60
        .size:           2
        .value_kind:     hidden_group_size_x
      - .offset:         62
        .size:           2
        .value_kind:     hidden_group_size_y
      - .offset:         64
        .size:           2
        .value_kind:     hidden_group_size_z
      - .offset:         66
        .size:           2
        .value_kind:     hidden_remainder_x
      - .offset:         68
        .size:           2
        .value_kind:     hidden_remainder_y
      - .offset:         70
        .size:           2
        .value_kind:     hidden_remainder_z
      - .offset:         88
        .size:           8
        .value_kind:     hidden_global_offset_x
      - .offset:         96
        .size:           8
        .value_kind:     hidden_global_offset_y
      - .offset:         104
        .size:           8
        .value_kind:     hidden_global_offset_z
      - .offset:         112
        .size:           2
        .value_kind:     hidden_grid_dims
    .group_segment_fixed_size: 0
    .kernarg_segment_align: 8
    .kernarg_segment_size: 304
    .language:       OpenCL C
    .language_version:
      - 2
      - 0
    .max_flat_workgroup_size: 1024
    .name:           _ZN9rocsolver6v33100L13gels_set_zeroI19rocblas_complex_numIfEPKPS3_EEviiiT0_iilPKi
    .private_segment_fixed_size: 0
    .sgpr_count:     14
    .sgpr_spill_count: 0
    .symbol:         _ZN9rocsolver6v33100L13gels_set_zeroI19rocblas_complex_numIfEPKPS3_EEviiiT0_iilPKi.kd
    .uniform_work_group_size: 1
    .uses_dynamic_stack: false
    .vgpr_count:     3
    .vgpr_spill_count: 0
    .wavefront_size: 32
  - .args:
      - .address_space:  global
        .offset:         0
        .size:           8
        .value_kind:     global_buffer
      - .offset:         8
        .size:           4
        .value_kind:     by_value
      - .offset:         16
        .size:           16
        .value_kind:     by_value
    .group_segment_fixed_size: 0
    .kernarg_segment_align: 8
    .kernarg_segment_size: 32
    .language:       OpenCL C
    .language_version:
      - 2
      - 0
    .max_flat_workgroup_size: 32
    .name:           _ZN9rocsolver6v33100L6iota_nI19rocblas_complex_numIdEEEvPT_jS4_
    .private_segment_fixed_size: 0
    .sgpr_count:     10
    .sgpr_spill_count: 0
    .symbol:         _ZN9rocsolver6v33100L6iota_nI19rocblas_complex_numIdEEEvPT_jS4_.kd
    .uniform_work_group_size: 1
    .uses_dynamic_stack: false
    .vgpr_count:     6
    .vgpr_spill_count: 0
    .wavefront_size: 32
  - .args:
      - .offset:         0
        .size:           4
        .value_kind:     by_value
      - .offset:         4
        .size:           4
        .value_kind:     by_value
      - .address_space:  global
        .offset:         8
        .size:           8
        .value_kind:     global_buffer
      - .offset:         16
        .size:           4
        .value_kind:     by_value
      - .offset:         20
        .size:           4
        .value_kind:     by_value
      - .offset:         24
        .size:           8
        .value_kind:     by_value
      - .offset:         32
        .size:           4
        .value_kind:     by_value
      - .offset:         40
        .size:           4
        .value_kind:     hidden_block_count_x
      - .offset:         44
        .size:           4
        .value_kind:     hidden_block_count_y
      - .offset:         48
        .size:           4
        .value_kind:     hidden_block_count_z
      - .offset:         52
        .size:           2
        .value_kind:     hidden_group_size_x
      - .offset:         54
        .size:           2
        .value_kind:     hidden_group_size_y
      - .offset:         56
        .size:           2
        .value_kind:     hidden_group_size_z
      - .offset:         58
        .size:           2
        .value_kind:     hidden_remainder_x
      - .offset:         60
        .size:           2
        .value_kind:     hidden_remainder_y
      - .offset:         62
        .size:           2
        .value_kind:     hidden_remainder_z
      - .offset:         80
        .size:           8
        .value_kind:     hidden_global_offset_x
      - .offset:         88
        .size:           8
        .value_kind:     hidden_global_offset_y
      - .offset:         96
        .size:           8
        .value_kind:     hidden_global_offset_z
      - .offset:         104
        .size:           2
        .value_kind:     hidden_grid_dims
    .group_segment_fixed_size: 0
    .kernarg_segment_align: 8
    .kernarg_segment_size: 296
    .language:       OpenCL C
    .language_version:
      - 2
      - 0
    .max_flat_workgroup_size: 1024
    .name:           _ZN9rocsolver6v33100L8set_zeroI19rocblas_complex_numIdEPKPS3_EEviiT0_iil13rocblas_fill_
    .private_segment_fixed_size: 0
    .sgpr_count:     13
    .sgpr_spill_count: 0
    .symbol:         _ZN9rocsolver6v33100L8set_zeroI19rocblas_complex_numIdEPKPS3_EEviiT0_iil13rocblas_fill_.kd
    .uniform_work_group_size: 1
    .uses_dynamic_stack: false
    .vgpr_count:     6
    .vgpr_spill_count: 0
    .wavefront_size: 32
  - .args:
      - .offset:         0
        .size:           4
        .value_kind:     by_value
      - .offset:         4
        .size:           4
        .value_kind:     by_value
      - .address_space:  global
        .offset:         8
        .size:           8
        .value_kind:     global_buffer
      - .offset:         16
        .size:           8
        .value_kind:     by_value
      - .offset:         24
        .size:           4
        .value_kind:     by_value
      - .offset:         32
        .size:           8
        .value_kind:     by_value
      - .address_space:  global
        .offset:         40
        .size:           8
        .value_kind:     global_buffer
      - .offset:         48
        .size:           8
        .value_kind:     by_value
      - .address_space:  global
        .offset:         56
        .size:           8
        .value_kind:     global_buffer
      - .offset:         64
        .size:           8
        .value_kind:     by_value
    .group_segment_fixed_size: 0
    .kernarg_segment_align: 8
    .kernarg_segment_size: 72
    .language:       OpenCL C
    .language_version:
      - 2
      - 0
    .max_flat_workgroup_size: 256
    .name:           _ZN9rocsolver6v33100L18geqr2_kernel_smallILi256E19rocblas_complex_numIdEidPKPS3_EEvT1_S7_T3_lS7_lPT2_lPT0_l
    .private_segment_fixed_size: 0
    .sgpr_count:     40
    .sgpr_spill_count: 0
    .symbol:         _ZN9rocsolver6v33100L18geqr2_kernel_smallILi256E19rocblas_complex_numIdEidPKPS3_EEvT1_S7_T3_lS7_lPT2_lPT0_l.kd
    .uniform_work_group_size: 1
    .uses_dynamic_stack: false
    .vgpr_count:     58
    .vgpr_spill_count: 0
    .wavefront_size: 32
  - .args:
      - .address_space:  global
        .offset:         0
        .size:           8
        .value_kind:     global_buffer
      - .offset:         8
        .size:           8
        .value_kind:     by_value
      - .offset:         16
        .size:           4
        .value_kind:     by_value
      - .offset:         20
        .size:           4
        .value_kind:     by_value
      - .offset:         24
        .size:           4
        .value_kind:     hidden_block_count_x
      - .offset:         28
        .size:           4
        .value_kind:     hidden_block_count_y
      - .offset:         32
        .size:           4
        .value_kind:     hidden_block_count_z
      - .offset:         36
        .size:           2
        .value_kind:     hidden_group_size_x
      - .offset:         38
        .size:           2
        .value_kind:     hidden_group_size_y
      - .offset:         40
        .size:           2
        .value_kind:     hidden_group_size_z
      - .offset:         42
        .size:           2
        .value_kind:     hidden_remainder_x
      - .offset:         44
        .size:           2
        .value_kind:     hidden_remainder_y
      - .offset:         46
        .size:           2
        .value_kind:     hidden_remainder_z
      - .offset:         64
        .size:           8
        .value_kind:     hidden_global_offset_x
      - .offset:         72
        .size:           8
        .value_kind:     hidden_global_offset_y
      - .offset:         80
        .size:           8
        .value_kind:     hidden_global_offset_z
      - .offset:         88
        .size:           2
        .value_kind:     hidden_grid_dims
    .group_segment_fixed_size: 0
    .kernarg_segment_align: 8
    .kernarg_segment_size: 280
    .language:       OpenCL C
    .language_version:
      - 2
      - 0
    .max_flat_workgroup_size: 1024
    .name:           _ZN9rocsolver6v33100L16reset_batch_infoI19rocblas_complex_numIdEiiPS3_EEvT2_lT0_T1_
    .private_segment_fixed_size: 0
    .sgpr_count:     10
    .sgpr_spill_count: 0
    .symbol:         _ZN9rocsolver6v33100L16reset_batch_infoI19rocblas_complex_numIdEiiPS3_EEvT2_lT0_T1_.kd
    .uniform_work_group_size: 1
    .uses_dynamic_stack: false
    .vgpr_count:     6
    .vgpr_spill_count: 0
    .wavefront_size: 32
  - .args:
      - .address_space:  global
        .offset:         0
        .size:           8
        .value_kind:     global_buffer
      - .offset:         8
        .size:           8
        .value_kind:     by_value
      - .offset:         16
        .size:           8
        .value_kind:     by_value
      - .address_space:  global
        .offset:         24
        .size:           8
        .value_kind:     global_buffer
      - .offset:         32
        .size:           8
        .value_kind:     by_value
      - .offset:         40
        .size:           4
        .value_kind:     by_value
      - .offset:         48
        .size:           8
        .value_kind:     by_value
      - .offset:         56
        .size:           4
        .value_kind:     by_value
      - .offset:         60
        .size:           1
        .value_kind:     by_value
      - .offset:         64
        .size:           4
        .value_kind:     hidden_block_count_x
      - .offset:         68
        .size:           4
        .value_kind:     hidden_block_count_y
      - .offset:         72
        .size:           4
        .value_kind:     hidden_block_count_z
      - .offset:         76
        .size:           2
        .value_kind:     hidden_group_size_x
      - .offset:         78
        .size:           2
        .value_kind:     hidden_group_size_y
      - .offset:         80
        .size:           2
        .value_kind:     hidden_group_size_z
      - .offset:         82
        .size:           2
        .value_kind:     hidden_remainder_x
      - .offset:         84
        .size:           2
        .value_kind:     hidden_remainder_y
      - .offset:         86
        .size:           2
        .value_kind:     hidden_remainder_z
      - .offset:         104
        .size:           8
        .value_kind:     hidden_global_offset_x
      - .offset:         112
        .size:           8
        .value_kind:     hidden_global_offset_y
      - .offset:         120
        .size:           8
        .value_kind:     hidden_global_offset_z
      - .offset:         128
        .size:           2
        .value_kind:     hidden_grid_dims
    .group_segment_fixed_size: 0
    .kernarg_segment_align: 8
    .kernarg_segment_size: 320
    .language:       OpenCL C
    .language_version:
      - 2
      - 0
    .max_flat_workgroup_size: 1024
    .name:           _ZN9rocsolver6v33100L8set_diagI19rocblas_complex_numIdEidPKPS3_TnNSt9enable_ifIXaa18rocblas_is_complexIT_Ent18rocblas_is_complexIT1_EEiE4typeELi0EEEvPS9_llT2_lT0_lSE_b
    .private_segment_fixed_size: 0
    .sgpr_count:     19
    .sgpr_spill_count: 0
    .symbol:         _ZN9rocsolver6v33100L8set_diagI19rocblas_complex_numIdEidPKPS3_TnNSt9enable_ifIXaa18rocblas_is_complexIT_Ent18rocblas_is_complexIT1_EEiE4typeELi0EEEvPS9_llT2_lT0_lSE_b.kd
    .uniform_work_group_size: 1
    .uses_dynamic_stack: false
    .vgpr_count:     6
    .vgpr_spill_count: 0
    .wavefront_size: 32
  - .args:
      - .address_space:  global
        .offset:         0
        .size:           8
        .value_kind:     global_buffer
      - .offset:         8
        .size:           8
        .value_kind:     by_value
      - .address_space:  global
        .offset:         16
        .size:           8
        .value_kind:     global_buffer
      - .address_space:  global
        .offset:         24
        .size:           8
        .value_kind:     global_buffer
      - .offset:         32
        .size:           8
        .value_kind:     by_value
      - .offset:         40
        .size:           8
        .value_kind:     by_value
      - .address_space:  global
        .offset:         48
        .size:           8
        .value_kind:     global_buffer
      - .offset:         56
        .size:           8
        .value_kind:     by_value
      - .offset:         64
        .size:           8
        .value_kind:     by_value
    .group_segment_fixed_size: 0
    .kernarg_segment_align: 8
    .kernarg_segment_size: 72
    .language:       OpenCL C
    .language_version:
      - 2
      - 0
    .max_flat_workgroup_size: 1024
    .name:           _ZN9rocsolver6v33100L11set_taubetaI19rocblas_complex_numIdEidPKPS3_EEvPT_lS8_T2_llPT1_ll
    .private_segment_fixed_size: 0
    .sgpr_count:     23
    .sgpr_spill_count: 0
    .symbol:         _ZN9rocsolver6v33100L11set_taubetaI19rocblas_complex_numIdEidPKPS3_EEvPT_lS8_T2_llPT1_ll.kd
    .uniform_work_group_size: 1
    .uses_dynamic_stack: false
    .vgpr_count:     43
    .vgpr_spill_count: 0
    .wavefront_size: 32
  - .args:
      - .offset:         0
        .size:           4
        .value_kind:     by_value
      - .offset:         4
        .size:           4
        .value_kind:     by_value
      - .address_space:  global
        .offset:         8
        .size:           8
        .value_kind:     global_buffer
      - .offset:         16
        .size:           8
        .value_kind:     by_value
      - .offset:         24
        .size:           4
        .value_kind:     by_value
      - .offset:         32
        .size:           8
        .value_kind:     by_value
      - .offset:         40
        .size:           4
        .value_kind:     hidden_block_count_x
      - .offset:         44
        .size:           4
        .value_kind:     hidden_block_count_y
      - .offset:         48
        .size:           4
        .value_kind:     hidden_block_count_z
      - .offset:         52
        .size:           2
        .value_kind:     hidden_group_size_x
      - .offset:         54
        .size:           2
        .value_kind:     hidden_group_size_y
      - .offset:         56
        .size:           2
        .value_kind:     hidden_group_size_z
      - .offset:         58
        .size:           2
        .value_kind:     hidden_remainder_x
      - .offset:         60
        .size:           2
        .value_kind:     hidden_remainder_y
      - .offset:         62
        .size:           2
        .value_kind:     hidden_remainder_z
      - .offset:         80
        .size:           8
        .value_kind:     hidden_global_offset_x
      - .offset:         88
        .size:           8
        .value_kind:     hidden_global_offset_y
      - .offset:         96
        .size:           8
        .value_kind:     hidden_global_offset_z
      - .offset:         104
        .size:           2
        .value_kind:     hidden_grid_dims
    .group_segment_fixed_size: 0
    .kernarg_segment_align: 8
    .kernarg_segment_size: 296
    .language:       OpenCL C
    .language_version:
      - 2
      - 0
    .max_flat_workgroup_size: 1024
    .name:           _ZN9rocsolver6v33100L13conj_in_placeI19rocblas_complex_numIdEiPS3_TnNSt9enable_ifIX18rocblas_is_complexIT_EEiE4typeELi0EEEvT0_S9_T1_lS9_l
    .private_segment_fixed_size: 0
    .sgpr_count:     16
    .sgpr_spill_count: 0
    .symbol:         _ZN9rocsolver6v33100L13conj_in_placeI19rocblas_complex_numIdEiPS3_TnNSt9enable_ifIX18rocblas_is_complexIT_EEiE4typeELi0EEEvT0_S9_T1_lS9_l.kd
    .uniform_work_group_size: 1
    .uses_dynamic_stack: false
    .vgpr_count:     8
    .vgpr_spill_count: 0
    .wavefront_size: 32
  - .args:
      - .offset:         0
        .size:           4
        .value_kind:     by_value
      - .offset:         4
        .size:           4
        .value_kind:     by_value
      - .address_space:  global
        .offset:         8
        .size:           8
        .value_kind:     global_buffer
      - .offset:         16
        .size:           8
        .value_kind:     by_value
      - .offset:         24
        .size:           4
        .value_kind:     by_value
      - .offset:         32
        .size:           8
        .value_kind:     by_value
      - .address_space:  global
        .offset:         40
        .size:           8
        .value_kind:     global_buffer
      - .offset:         48
        .size:           8
        .value_kind:     by_value
      - .address_space:  global
        .offset:         56
        .size:           8
        .value_kind:     global_buffer
      - .offset:         64
        .size:           8
        .value_kind:     by_value
      - .offset:         72
        .size:           4
        .value_kind:     by_value
      - .offset:         80
        .size:           8
        .value_kind:     by_value
    .group_segment_fixed_size: 0
    .kernarg_segment_align: 8
    .kernarg_segment_size: 88
    .language:       OpenCL C
    .language_version:
      - 2
      - 0
    .max_flat_workgroup_size: 1024
    .name:           _ZN9rocsolver6v33100L16larf_left_kernelILi1024E19rocblas_complex_numIdEiPKPS3_EEvT1_S7_T2_lS7_lPKT0_lS8_lS7_l
    .private_segment_fixed_size: 0
    .sgpr_count:     26
    .sgpr_spill_count: 0
    .symbol:         _ZN9rocsolver6v33100L16larf_left_kernelILi1024E19rocblas_complex_numIdEiPKPS3_EEvT1_S7_T2_lS7_lPKT0_lS8_lS7_l.kd
    .uniform_work_group_size: 1
    .uses_dynamic_stack: false
    .vgpr_count:     20
    .vgpr_spill_count: 0
    .wavefront_size: 32
  - .args:
      - .offset:         0
        .size:           4
        .value_kind:     by_value
      - .offset:         4
        .size:           4
        .value_kind:     by_value
      - .address_space:  global
        .offset:         8
        .size:           8
        .value_kind:     global_buffer
      - .offset:         16
        .size:           8
        .value_kind:     by_value
      - .offset:         24
        .size:           4
        .value_kind:     by_value
      - .offset:         32
        .size:           8
        .value_kind:     by_value
      - .address_space:  global
        .offset:         40
        .size:           8
        .value_kind:     global_buffer
      - .offset:         48
        .size:           8
        .value_kind:     by_value
      - .address_space:  global
        .offset:         56
        .size:           8
        .value_kind:     global_buffer
      - .offset:         64
        .size:           8
        .value_kind:     by_value
      - .offset:         72
        .size:           4
        .value_kind:     by_value
      - .offset:         80
        .size:           8
        .value_kind:     by_value
    .group_segment_fixed_size: 0
    .kernarg_segment_align: 8
    .kernarg_segment_size: 88
    .language:       OpenCL C
    .language_version:
      - 2
      - 0
    .max_flat_workgroup_size: 1024
    .name:           _ZN9rocsolver6v33100L17larf_right_kernelILi1024E19rocblas_complex_numIdEiPKPS3_EEvT1_S7_T2_lS7_lPKT0_lS8_lS7_l
    .private_segment_fixed_size: 0
    .sgpr_count:     26
    .sgpr_spill_count: 0
    .symbol:         _ZN9rocsolver6v33100L17larf_right_kernelILi1024E19rocblas_complex_numIdEiPKPS3_EEvT1_S7_T2_lS7_lPKT0_lS8_lS7_l.kd
    .uniform_work_group_size: 1
    .uses_dynamic_stack: false
    .vgpr_count:     20
    .vgpr_spill_count: 0
    .wavefront_size: 32
  - .args:
      - .address_space:  global
        .offset:         0
        .size:           8
        .value_kind:     global_buffer
      - .address_space:  global
        .offset:         8
        .size:           8
        .value_kind:     global_buffer
      - .offset:         16
        .size:           8
        .value_kind:     by_value
      - .offset:         24
        .size:           4
        .value_kind:     by_value
      - .offset:         32
        .size:           4
        .value_kind:     hidden_block_count_x
      - .offset:         36
        .size:           4
        .value_kind:     hidden_block_count_y
      - .offset:         40
        .size:           4
        .value_kind:     hidden_block_count_z
      - .offset:         44
        .size:           2
        .value_kind:     hidden_group_size_x
      - .offset:         46
        .size:           2
        .value_kind:     hidden_group_size_y
      - .offset:         48
        .size:           2
        .value_kind:     hidden_group_size_z
      - .offset:         50
        .size:           2
        .value_kind:     hidden_remainder_x
      - .offset:         52
        .size:           2
        .value_kind:     hidden_remainder_y
      - .offset:         54
        .size:           2
        .value_kind:     hidden_remainder_z
      - .offset:         72
        .size:           8
        .value_kind:     hidden_global_offset_x
      - .offset:         80
        .size:           8
        .value_kind:     hidden_global_offset_y
      - .offset:         88
        .size:           8
        .value_kind:     hidden_global_offset_z
      - .offset:         96
        .size:           2
        .value_kind:     hidden_grid_dims
    .group_segment_fixed_size: 0
    .kernarg_segment_align: 8
    .kernarg_segment_size: 288
    .language:       OpenCL C
    .language_version:
      - 2
      - 0
    .max_flat_workgroup_size: 1024
    .name:           _ZN9rocsolver6v33100L9get_arrayI19rocblas_complex_numIdEiEEvPPT_S5_lT0_
    .private_segment_fixed_size: 0
    .sgpr_count:     7
    .sgpr_spill_count: 0
    .symbol:         _ZN9rocsolver6v33100L9get_arrayI19rocblas_complex_numIdEiEEvPPT_S5_lT0_.kd
    .uniform_work_group_size: 1
    .uses_dynamic_stack: false
    .vgpr_count:     4
    .vgpr_spill_count: 0
    .wavefront_size: 32
  - .args:
      - .address_space:  global
        .offset:         0
        .size:           8
        .value_kind:     global_buffer
      - .offset:         8
        .size:           8
        .value_kind:     by_value
      - .offset:         16
        .size:           8
        .value_kind:     by_value
      - .address_space:  global
        .offset:         24
        .size:           8
        .value_kind:     global_buffer
      - .offset:         32
        .size:           8
        .value_kind:     by_value
      - .offset:         40
        .size:           4
        .value_kind:     by_value
      - .offset:         48
        .size:           8
        .value_kind:     by_value
      - .offset:         56
        .size:           4
        .value_kind:     by_value
      - .offset:         64
        .size:           4
        .value_kind:     hidden_block_count_x
      - .offset:         68
        .size:           4
        .value_kind:     hidden_block_count_y
      - .offset:         72
        .size:           4
        .value_kind:     hidden_block_count_z
      - .offset:         76
        .size:           2
        .value_kind:     hidden_group_size_x
      - .offset:         78
        .size:           2
        .value_kind:     hidden_group_size_y
      - .offset:         80
        .size:           2
        .value_kind:     hidden_group_size_z
      - .offset:         82
        .size:           2
        .value_kind:     hidden_remainder_x
      - .offset:         84
        .size:           2
        .value_kind:     hidden_remainder_y
      - .offset:         86
        .size:           2
        .value_kind:     hidden_remainder_z
      - .offset:         104
        .size:           8
        .value_kind:     hidden_global_offset_x
      - .offset:         112
        .size:           8
        .value_kind:     hidden_global_offset_y
      - .offset:         120
        .size:           8
        .value_kind:     hidden_global_offset_z
      - .offset:         128
        .size:           2
        .value_kind:     hidden_grid_dims
    .group_segment_fixed_size: 0
    .kernarg_segment_align: 8
    .kernarg_segment_size: 320
    .language:       OpenCL C
    .language_version:
      - 2
      - 0
    .max_flat_workgroup_size: 1024
    .name:           _ZN9rocsolver6v33100L12restore_diagI19rocblas_complex_numIdEidPKPS3_EEvPT1_llT2_lT0_lSA_
    .private_segment_fixed_size: 0
    .sgpr_count:     14
    .sgpr_spill_count: 0
    .symbol:         _ZN9rocsolver6v33100L12restore_diagI19rocblas_complex_numIdEidPKPS3_EEvPT1_llT2_lT0_lSA_.kd
    .uniform_work_group_size: 1
    .uses_dynamic_stack: false
    .vgpr_count:     6
    .vgpr_spill_count: 0
    .wavefront_size: 32
  - .args:
      - .offset:         0
        .size:           4
        .value_kind:     by_value
      - .offset:         4
        .size:           4
        .value_kind:     by_value
      - .address_space:  global
        .offset:         8
        .size:           8
        .value_kind:     global_buffer
      - .offset:         16
        .size:           4
        .value_kind:     by_value
      - .offset:         20
        .size:           4
        .value_kind:     by_value
      - .offset:         24
        .size:           8
        .value_kind:     by_value
      - .address_space:  global
        .offset:         32
        .size:           8
        .value_kind:     global_buffer
      - .offset:         40
        .size:           8
        .value_kind:     by_value
      - .address_space:  global
        .offset:         48
        .size:           8
        .value_kind:     global_buffer
      - .offset:         56
        .size:           4
        .value_kind:     by_value
      - .offset:         64
        .size:           8
        .value_kind:     by_value
      - .offset:         72
        .size:           4
        .value_kind:     by_value
      - .offset:         76
        .size:           4
        .value_kind:     by_value
      - .offset:         80
        .size:           1
        .value_kind:     by_value
      - .offset:         88
        .size:           4
        .value_kind:     hidden_block_count_x
      - .offset:         92
        .size:           4
        .value_kind:     hidden_block_count_y
      - .offset:         96
        .size:           4
        .value_kind:     hidden_block_count_z
      - .offset:         100
        .size:           2
        .value_kind:     hidden_group_size_x
      - .offset:         102
        .size:           2
        .value_kind:     hidden_group_size_y
      - .offset:         104
        .size:           2
        .value_kind:     hidden_group_size_z
      - .offset:         106
        .size:           2
        .value_kind:     hidden_remainder_x
      - .offset:         108
        .size:           2
        .value_kind:     hidden_remainder_y
      - .offset:         110
        .size:           2
        .value_kind:     hidden_remainder_z
      - .offset:         128
        .size:           8
        .value_kind:     hidden_global_offset_x
      - .offset:         136
        .size:           8
        .value_kind:     hidden_global_offset_y
      - .offset:         144
        .size:           8
        .value_kind:     hidden_global_offset_z
      - .offset:         152
        .size:           2
        .value_kind:     hidden_grid_dims
    .group_segment_fixed_size: 0
    .kernarg_segment_align: 8
    .kernarg_segment_size: 344
    .language:       OpenCL C
    .language_version:
      - 2
      - 0
    .max_flat_workgroup_size: 1024
    .name:           _ZN9rocsolver6v33100L14set_triangularI19rocblas_complex_numIdEPKPS3_TnNSt9enable_ifIX18rocblas_is_complexIT_EEiE4typeELi0EEEviiT0_iilPS8_lSC_il15rocblas_direct_15rocblas_storev_b
    .private_segment_fixed_size: 0
    .sgpr_count:     24
    .sgpr_spill_count: 0
    .symbol:         _ZN9rocsolver6v33100L14set_triangularI19rocblas_complex_numIdEPKPS3_TnNSt9enable_ifIX18rocblas_is_complexIT_EEiE4typeELi0EEEviiT0_iilPS8_lSC_il15rocblas_direct_15rocblas_storev_b.kd
    .uniform_work_group_size: 1
    .uses_dynamic_stack: false
    .vgpr_count:     20
    .vgpr_spill_count: 0
    .wavefront_size: 32
  - .args:
      - .offset:         0
        .size:           4
        .value_kind:     by_value
      - .address_space:  global
        .offset:         8
        .size:           8
        .value_kind:     global_buffer
      - .offset:         16
        .size:           8
        .value_kind:     by_value
      - .offset:         24
        .size:           4
        .value_kind:     hidden_block_count_x
      - .offset:         28
        .size:           4
        .value_kind:     hidden_block_count_y
      - .offset:         32
        .size:           4
        .value_kind:     hidden_block_count_z
      - .offset:         36
        .size:           2
        .value_kind:     hidden_group_size_x
      - .offset:         38
        .size:           2
        .value_kind:     hidden_group_size_y
      - .offset:         40
        .size:           2
        .value_kind:     hidden_group_size_z
      - .offset:         42
        .size:           2
        .value_kind:     hidden_remainder_x
      - .offset:         44
        .size:           2
        .value_kind:     hidden_remainder_y
      - .offset:         46
        .size:           2
        .value_kind:     hidden_remainder_z
      - .offset:         64
        .size:           8
        .value_kind:     hidden_global_offset_x
      - .offset:         72
        .size:           8
        .value_kind:     hidden_global_offset_y
      - .offset:         80
        .size:           8
        .value_kind:     hidden_global_offset_z
      - .offset:         88
        .size:           2
        .value_kind:     hidden_grid_dims
    .group_segment_fixed_size: 0
    .kernarg_segment_align: 8
    .kernarg_segment_size: 280
    .language:       OpenCL C
    .language_version:
      - 2
      - 0
    .max_flat_workgroup_size: 1024
    .name:           _ZN9rocsolver6v33100L7set_tauI19rocblas_complex_numIdEEEviPT_l
    .private_segment_fixed_size: 0
    .sgpr_count:     10
    .sgpr_spill_count: 0
    .symbol:         _ZN9rocsolver6v33100L7set_tauI19rocblas_complex_numIdEEEviPT_l.kd
    .uniform_work_group_size: 1
    .uses_dynamic_stack: false
    .vgpr_count:     6
    .vgpr_spill_count: 0
    .wavefront_size: 32
  - .args:
      - .offset:         0
        .size:           4
        .value_kind:     by_value
      - .offset:         4
        .size:           4
        .value_kind:     by_value
      - .offset:         8
        .size:           4
        .value_kind:     by_value
      - .address_space:  global
        .offset:         16
        .size:           8
        .value_kind:     global_buffer
      - .offset:         24
        .size:           4
        .value_kind:     by_value
      - .offset:         28
        .size:           4
        .value_kind:     by_value
      - .offset:         32
        .size:           8
        .value_kind:     by_value
      - .address_space:  global
        .offset:         40
        .size:           8
        .value_kind:     global_buffer
      - .offset:         48
        .size:           8
        .value_kind:     by_value
      - .address_space:  global
        .offset:         56
        .size:           8
        .value_kind:     global_buffer
      - .offset:         64
        .size:           4
        .value_kind:     by_value
      - .offset:         72
        .size:           8
        .value_kind:     by_value
      - .offset:         80
        .size:           4
        .value_kind:     hidden_block_count_x
      - .offset:         84
        .size:           4
        .value_kind:     hidden_block_count_y
      - .offset:         88
        .size:           4
        .value_kind:     hidden_block_count_z
      - .offset:         92
        .size:           2
        .value_kind:     hidden_group_size_x
      - .offset:         94
        .size:           2
        .value_kind:     hidden_group_size_y
      - .offset:         96
        .size:           2
        .value_kind:     hidden_group_size_z
      - .offset:         98
        .size:           2
        .value_kind:     hidden_remainder_x
      - .offset:         100
        .size:           2
        .value_kind:     hidden_remainder_y
      - .offset:         102
        .size:           2
        .value_kind:     hidden_remainder_z
      - .offset:         120
        .size:           8
        .value_kind:     hidden_global_offset_x
      - .offset:         128
        .size:           8
        .value_kind:     hidden_global_offset_y
      - .offset:         136
        .size:           8
        .value_kind:     hidden_global_offset_z
      - .offset:         144
        .size:           2
        .value_kind:     hidden_grid_dims
      - .offset:         200
        .size:           4
        .value_kind:     hidden_dynamic_lds_size
    .group_segment_fixed_size: 0
    .kernarg_segment_align: 8
    .kernarg_segment_size: 336
    .language:       OpenCL C
    .language_version:
      - 2
      - 0
    .max_flat_workgroup_size: 1024
    .name:           _ZN9rocsolver6v33100L20larft_kernel_forwardI19rocblas_complex_numIdEPKPS3_EEv15rocblas_storev_iiT0_iilPT_lSA_il
    .private_segment_fixed_size: 0
    .sgpr_count:     48
    .sgpr_spill_count: 0
    .symbol:         _ZN9rocsolver6v33100L20larft_kernel_forwardI19rocblas_complex_numIdEPKPS3_EEv15rocblas_storev_iiT0_iilPT_lSA_il.kd
    .uniform_work_group_size: 1
    .uses_dynamic_stack: false
    .vgpr_count:     30
    .vgpr_spill_count: 0
    .wavefront_size: 32
  - .args:
      - .offset:         0
        .size:           4
        .value_kind:     by_value
      - .offset:         4
        .size:           4
        .value_kind:     by_value
      - .address_space:  global
        .offset:         8
        .size:           8
        .value_kind:     global_buffer
      - .offset:         16
        .size:           8
        .value_kind:     by_value
      - .offset:         24
        .size:           4
        .value_kind:     by_value
      - .offset:         32
        .size:           8
        .value_kind:     by_value
      - .offset:         40
        .size:           4
        .value_kind:     hidden_block_count_x
      - .offset:         44
        .size:           4
        .value_kind:     hidden_block_count_y
      - .offset:         48
        .size:           4
        .value_kind:     hidden_block_count_z
      - .offset:         52
        .size:           2
        .value_kind:     hidden_group_size_x
      - .offset:         54
        .size:           2
        .value_kind:     hidden_group_size_y
      - .offset:         56
        .size:           2
        .value_kind:     hidden_group_size_z
      - .offset:         58
        .size:           2
        .value_kind:     hidden_remainder_x
      - .offset:         60
        .size:           2
        .value_kind:     hidden_remainder_y
      - .offset:         62
        .size:           2
        .value_kind:     hidden_remainder_z
      - .offset:         80
        .size:           8
        .value_kind:     hidden_global_offset_x
      - .offset:         88
        .size:           8
        .value_kind:     hidden_global_offset_y
      - .offset:         96
        .size:           8
        .value_kind:     hidden_global_offset_z
      - .offset:         104
        .size:           2
        .value_kind:     hidden_grid_dims
    .group_segment_fixed_size: 0
    .kernarg_segment_align: 8
    .kernarg_segment_size: 296
    .language:       OpenCL C
    .language_version:
      - 2
      - 0
    .max_flat_workgroup_size: 1024
    .name:           _ZN9rocsolver6v33100L13conj_in_placeI19rocblas_complex_numIdEiPKPS3_TnNSt9enable_ifIX18rocblas_is_complexIT_EEiE4typeELi0EEEvT0_SB_T1_lSB_l
    .private_segment_fixed_size: 0
    .sgpr_count:     13
    .sgpr_spill_count: 0
    .symbol:         _ZN9rocsolver6v33100L13conj_in_placeI19rocblas_complex_numIdEiPKPS3_TnNSt9enable_ifIX18rocblas_is_complexIT_EEiE4typeELi0EEEvT0_SB_T1_lSB_l.kd
    .uniform_work_group_size: 1
    .uses_dynamic_stack: false
    .vgpr_count:     8
    .vgpr_spill_count: 0
    .wavefront_size: 32
  - .args:
      - .offset:         0
        .size:           4
        .value_kind:     by_value
      - .offset:         4
        .size:           4
        .value_kind:     by_value
      - .offset:         8
        .size:           4
        .value_kind:     by_value
      - .address_space:  global
        .offset:         16
        .size:           8
        .value_kind:     global_buffer
      - .offset:         24
        .size:           4
        .value_kind:     by_value
      - .offset:         28
        .size:           4
        .value_kind:     by_value
      - .offset:         32
        .size:           8
        .value_kind:     by_value
      - .address_space:  global
        .offset:         40
        .size:           8
        .value_kind:     global_buffer
      - .offset:         48
        .size:           8
        .value_kind:     by_value
      - .address_space:  global
        .offset:         56
        .size:           8
        .value_kind:     global_buffer
      - .offset:         64
        .size:           4
        .value_kind:     by_value
      - .offset:         72
        .size:           8
        .value_kind:     by_value
      - .offset:         80
        .size:           4
        .value_kind:     hidden_block_count_x
      - .offset:         84
        .size:           4
        .value_kind:     hidden_block_count_y
      - .offset:         88
        .size:           4
        .value_kind:     hidden_block_count_z
      - .offset:         92
        .size:           2
        .value_kind:     hidden_group_size_x
      - .offset:         94
        .size:           2
        .value_kind:     hidden_group_size_y
      - .offset:         96
        .size:           2
        .value_kind:     hidden_group_size_z
      - .offset:         98
        .size:           2
        .value_kind:     hidden_remainder_x
      - .offset:         100
        .size:           2
        .value_kind:     hidden_remainder_y
      - .offset:         102
        .size:           2
        .value_kind:     hidden_remainder_z
      - .offset:         120
        .size:           8
        .value_kind:     hidden_global_offset_x
      - .offset:         128
        .size:           8
        .value_kind:     hidden_global_offset_y
      - .offset:         136
        .size:           8
        .value_kind:     hidden_global_offset_z
      - .offset:         144
        .size:           2
        .value_kind:     hidden_grid_dims
      - .offset:         200
        .size:           4
        .value_kind:     hidden_dynamic_lds_size
    .group_segment_fixed_size: 0
    .kernarg_segment_align: 8
    .kernarg_segment_size: 336
    .language:       OpenCL C
    .language_version:
      - 2
      - 0
    .max_flat_workgroup_size: 1024
    .name:           _ZN9rocsolver6v33100L21larft_kernel_backwardI19rocblas_complex_numIdEPKPS3_EEv15rocblas_storev_iiT0_iilPT_lSA_il
    .private_segment_fixed_size: 0
    .sgpr_count:     46
    .sgpr_spill_count: 0
    .symbol:         _ZN9rocsolver6v33100L21larft_kernel_backwardI19rocblas_complex_numIdEPKPS3_EEv15rocblas_storev_iiT0_iilPT_lSA_il.kd
    .uniform_work_group_size: 1
    .uses_dynamic_stack: false
    .vgpr_count:     28
    .vgpr_spill_count: 0
    .wavefront_size: 32
  - .args:
      - .offset:         0
        .size:           4
        .value_kind:     by_value
      - .offset:         4
        .size:           4
        .value_kind:     by_value
      - .address_space:  global
        .offset:         8
        .size:           8
        .value_kind:     global_buffer
      - .offset:         16
        .size:           4
        .value_kind:     by_value
      - .offset:         20
        .size:           4
        .value_kind:     by_value
      - .offset:         24
        .size:           8
        .value_kind:     by_value
      - .address_space:  global
        .offset:         32
        .size:           8
        .value_kind:     global_buffer
      - .offset:         40
        .size:           4
        .value_kind:     hidden_block_count_x
      - .offset:         44
        .size:           4
        .value_kind:     hidden_block_count_y
      - .offset:         48
        .size:           4
        .value_kind:     hidden_block_count_z
      - .offset:         52
        .size:           2
        .value_kind:     hidden_group_size_x
      - .offset:         54
        .size:           2
        .value_kind:     hidden_group_size_y
      - .offset:         56
        .size:           2
        .value_kind:     hidden_group_size_z
      - .offset:         58
        .size:           2
        .value_kind:     hidden_remainder_x
      - .offset:         60
        .size:           2
        .value_kind:     hidden_remainder_y
      - .offset:         62
        .size:           2
        .value_kind:     hidden_remainder_z
      - .offset:         80
        .size:           8
        .value_kind:     hidden_global_offset_x
      - .offset:         88
        .size:           8
        .value_kind:     hidden_global_offset_y
      - .offset:         96
        .size:           8
        .value_kind:     hidden_global_offset_z
      - .offset:         104
        .size:           2
        .value_kind:     hidden_grid_dims
    .group_segment_fixed_size: 0
    .kernarg_segment_align: 8
    .kernarg_segment_size: 296
    .language:       OpenCL C
    .language_version:
      - 2
      - 0
    .max_flat_workgroup_size: 1024
    .name:           _ZN9rocsolver6v33100L9copymatA1I19rocblas_complex_numIdEPKPS3_EEviiT0_iilPT_
    .private_segment_fixed_size: 0
    .sgpr_count:     20
    .sgpr_spill_count: 0
    .symbol:         _ZN9rocsolver6v33100L9copymatA1I19rocblas_complex_numIdEPKPS3_EEviiT0_iilPT_.kd
    .uniform_work_group_size: 1
    .uses_dynamic_stack: false
    .vgpr_count:     6
    .vgpr_spill_count: 0
    .wavefront_size: 32
  - .args:
      - .offset:         0
        .size:           4
        .value_kind:     by_value
      - .offset:         4
        .size:           4
        .value_kind:     by_value
      - .address_space:  global
        .offset:         8
        .size:           8
        .value_kind:     global_buffer
      - .offset:         16
        .size:           4
        .value_kind:     by_value
      - .offset:         20
        .size:           4
        .value_kind:     by_value
      - .offset:         24
        .size:           8
        .value_kind:     by_value
      - .address_space:  global
        .offset:         32
        .size:           8
        .value_kind:     global_buffer
      - .offset:         40
        .size:           4
        .value_kind:     hidden_block_count_x
      - .offset:         44
        .size:           4
        .value_kind:     hidden_block_count_y
      - .offset:         48
        .size:           4
        .value_kind:     hidden_block_count_z
      - .offset:         52
        .size:           2
        .value_kind:     hidden_group_size_x
      - .offset:         54
        .size:           2
        .value_kind:     hidden_group_size_y
      - .offset:         56
        .size:           2
        .value_kind:     hidden_group_size_z
      - .offset:         58
        .size:           2
        .value_kind:     hidden_remainder_x
      - .offset:         60
        .size:           2
        .value_kind:     hidden_remainder_y
      - .offset:         62
        .size:           2
        .value_kind:     hidden_remainder_z
      - .offset:         80
        .size:           8
        .value_kind:     hidden_global_offset_x
      - .offset:         88
        .size:           8
        .value_kind:     hidden_global_offset_y
      - .offset:         96
        .size:           8
        .value_kind:     hidden_global_offset_z
      - .offset:         104
        .size:           2
        .value_kind:     hidden_grid_dims
    .group_segment_fixed_size: 0
    .kernarg_segment_align: 8
    .kernarg_segment_size: 296
    .language:       OpenCL C
    .language_version:
      - 2
      - 0
    .max_flat_workgroup_size: 1024
    .name:           _ZN9rocsolver6v33100L8addmatA1I19rocblas_complex_numIdEPKPS3_EEviiT0_iilPT_
    .private_segment_fixed_size: 0
    .sgpr_count:     20
    .sgpr_spill_count: 0
    .symbol:         _ZN9rocsolver6v33100L8addmatA1I19rocblas_complex_numIdEPKPS3_EEviiT0_iilPT_.kd
    .uniform_work_group_size: 1
    .uses_dynamic_stack: false
    .vgpr_count:     10
    .vgpr_spill_count: 0
    .wavefront_size: 32
  - .args:
      - .address_space:  global
        .offset:         0
        .size:           8
        .value_kind:     global_buffer
      - .offset:         8
        .size:           8
        .value_kind:     by_value
      - .offset:         16
        .size:           8
        .value_kind:     by_value
      - .address_space:  global
        .offset:         24
        .size:           8
        .value_kind:     global_buffer
      - .offset:         32
        .size:           8
        .value_kind:     by_value
      - .offset:         40
        .size:           4
        .value_kind:     by_value
      - .offset:         48
        .size:           8
        .value_kind:     by_value
      - .offset:         56
        .size:           4
        .value_kind:     by_value
      - .offset:         60
        .size:           1
        .value_kind:     by_value
      - .offset:         64
        .size:           4
        .value_kind:     hidden_block_count_x
      - .offset:         68
        .size:           4
        .value_kind:     hidden_block_count_y
      - .offset:         72
        .size:           4
        .value_kind:     hidden_block_count_z
      - .offset:         76
        .size:           2
        .value_kind:     hidden_group_size_x
      - .offset:         78
        .size:           2
        .value_kind:     hidden_group_size_y
      - .offset:         80
        .size:           2
        .value_kind:     hidden_group_size_z
      - .offset:         82
        .size:           2
        .value_kind:     hidden_remainder_x
      - .offset:         84
        .size:           2
        .value_kind:     hidden_remainder_y
      - .offset:         86
        .size:           2
        .value_kind:     hidden_remainder_z
      - .offset:         104
        .size:           8
        .value_kind:     hidden_global_offset_x
      - .offset:         112
        .size:           8
        .value_kind:     hidden_global_offset_y
      - .offset:         120
        .size:           8
        .value_kind:     hidden_global_offset_z
      - .offset:         128
        .size:           2
        .value_kind:     hidden_grid_dims
    .group_segment_fixed_size: 0
    .kernarg_segment_align: 8
    .kernarg_segment_size: 320
    .language:       OpenCL C
    .language_version:
      - 2
      - 0
    .max_flat_workgroup_size: 1024
    .name:           _ZN9rocsolver6v33100L8set_diagI19rocblas_complex_numIdEiS3_PKPS3_TnNSt9enable_ifIXoont18rocblas_is_complexIT_E18rocblas_is_complexIT1_EEiE4typeELi0EEEvPS9_llT2_lT0_lSE_b
    .private_segment_fixed_size: 0
    .sgpr_count:     19
    .sgpr_spill_count: 0
    .symbol:         _ZN9rocsolver6v33100L8set_diagI19rocblas_complex_numIdEiS3_PKPS3_TnNSt9enable_ifIXoont18rocblas_is_complexIT_E18rocblas_is_complexIT1_EEiE4typeELi0EEEvPS9_llT2_lT0_lSE_b.kd
    .uniform_work_group_size: 1
    .uses_dynamic_stack: false
    .vgpr_count:     10
    .vgpr_spill_count: 0
    .wavefront_size: 32
  - .args:
      - .address_space:  global
        .offset:         0
        .size:           8
        .value_kind:     global_buffer
      - .offset:         8
        .size:           8
        .value_kind:     by_value
      - .offset:         16
        .size:           8
        .value_kind:     by_value
      - .address_space:  global
        .offset:         24
        .size:           8
        .value_kind:     global_buffer
      - .offset:         32
        .size:           8
        .value_kind:     by_value
      - .offset:         40
        .size:           4
        .value_kind:     by_value
      - .offset:         48
        .size:           8
        .value_kind:     by_value
      - .offset:         56
        .size:           4
        .value_kind:     by_value
      - .offset:         64
        .size:           4
        .value_kind:     hidden_block_count_x
      - .offset:         68
        .size:           4
        .value_kind:     hidden_block_count_y
      - .offset:         72
        .size:           4
        .value_kind:     hidden_block_count_z
      - .offset:         76
        .size:           2
        .value_kind:     hidden_group_size_x
      - .offset:         78
        .size:           2
        .value_kind:     hidden_group_size_y
      - .offset:         80
        .size:           2
        .value_kind:     hidden_group_size_z
      - .offset:         82
        .size:           2
        .value_kind:     hidden_remainder_x
      - .offset:         84
        .size:           2
        .value_kind:     hidden_remainder_y
      - .offset:         86
        .size:           2
        .value_kind:     hidden_remainder_z
      - .offset:         104
        .size:           8
        .value_kind:     hidden_global_offset_x
      - .offset:         112
        .size:           8
        .value_kind:     hidden_global_offset_y
      - .offset:         120
        .size:           8
        .value_kind:     hidden_global_offset_z
      - .offset:         128
        .size:           2
        .value_kind:     hidden_grid_dims
    .group_segment_fixed_size: 0
    .kernarg_segment_align: 8
    .kernarg_segment_size: 320
    .language:       OpenCL C
    .language_version:
      - 2
      - 0
    .max_flat_workgroup_size: 1024
    .name:           _ZN9rocsolver6v33100L12restore_diagI19rocblas_complex_numIdEiS3_PKPS3_EEvPT1_llT2_lT0_lSA_
    .private_segment_fixed_size: 0
    .sgpr_count:     14
    .sgpr_spill_count: 0
    .symbol:         _ZN9rocsolver6v33100L12restore_diagI19rocblas_complex_numIdEiS3_PKPS3_EEvPT1_llT2_lT0_lSA_.kd
    .uniform_work_group_size: 1
    .uses_dynamic_stack: false
    .vgpr_count:     6
    .vgpr_spill_count: 0
    .wavefront_size: 32
  - .args:
      - .offset:         0
        .size:           4
        .value_kind:     by_value
      - .address_space:  global
        .offset:         8
        .size:           8
        .value_kind:     global_buffer
      - .offset:         16
        .size:           4
        .value_kind:     by_value
      - .offset:         20
        .size:           4
        .value_kind:     by_value
      - .offset:         24
        .size:           8
        .value_kind:     by_value
      - .address_space:  global
        .offset:         32
        .size:           8
        .value_kind:     global_buffer
      - .offset:         40
        .size:           4
        .value_kind:     hidden_block_count_x
      - .offset:         44
        .size:           4
        .value_kind:     hidden_block_count_y
      - .offset:         48
        .size:           4
        .value_kind:     hidden_block_count_z
      - .offset:         52
        .size:           2
        .value_kind:     hidden_group_size_x
      - .offset:         54
        .size:           2
        .value_kind:     hidden_group_size_y
      - .offset:         56
        .size:           2
        .value_kind:     hidden_group_size_z
      - .offset:         58
        .size:           2
        .value_kind:     hidden_remainder_x
      - .offset:         60
        .size:           2
        .value_kind:     hidden_remainder_y
      - .offset:         62
        .size:           2
        .value_kind:     hidden_remainder_z
      - .offset:         80
        .size:           8
        .value_kind:     hidden_global_offset_x
      - .offset:         88
        .size:           8
        .value_kind:     hidden_global_offset_y
      - .offset:         96
        .size:           8
        .value_kind:     hidden_global_offset_z
      - .offset:         104
        .size:           2
        .value_kind:     hidden_grid_dims
    .group_segment_fixed_size: 4
    .kernarg_segment_align: 8
    .kernarg_segment_size: 296
    .language:       OpenCL C
    .language_version:
      - 2
      - 0
    .max_flat_workgroup_size: 1024
    .name:           _ZN9rocsolver6v33100L17check_singularityI19rocblas_complex_numIdEPKPS3_EEviT0_iilPi
    .private_segment_fixed_size: 0
    .sgpr_count:     18
    .sgpr_spill_count: 0
    .symbol:         _ZN9rocsolver6v33100L17check_singularityI19rocblas_complex_numIdEPKPS3_EEviT0_iilPi.kd
    .uniform_work_group_size: 1
    .uses_dynamic_stack: false
    .vgpr_count:     6
    .vgpr_spill_count: 0
    .wavefront_size: 32
  - .args:
      - .offset:         0
        .size:           4
        .value_kind:     by_value
      - .offset:         4
        .size:           4
        .value_kind:     by_value
      - .offset:         8
        .size:           4
        .value_kind:     by_value
      - .address_space:  global
        .offset:         16
        .size:           8
        .value_kind:     global_buffer
      - .offset:         24
        .size:           4
        .value_kind:     by_value
      - .offset:         28
        .size:           4
        .value_kind:     by_value
      - .offset:         32
        .size:           8
        .value_kind:     by_value
      - .address_space:  global
        .offset:         40
        .size:           8
        .value_kind:     global_buffer
      - .offset:         48
        .size:           16
        .value_kind:     by_value
      - .offset:         64
        .size:           4
        .value_kind:     by_value
      - .offset:         68
        .size:           4
        .value_kind:     by_value
      - .offset:         72
        .size:           4
        .value_kind:     hidden_block_count_x
      - .offset:         76
        .size:           4
        .value_kind:     hidden_block_count_y
      - .offset:         80
        .size:           4
        .value_kind:     hidden_block_count_z
      - .offset:         84
        .size:           2
        .value_kind:     hidden_group_size_x
      - .offset:         86
        .size:           2
        .value_kind:     hidden_group_size_y
      - .offset:         88
        .size:           2
        .value_kind:     hidden_group_size_z
      - .offset:         90
        .size:           2
        .value_kind:     hidden_remainder_x
      - .offset:         92
        .size:           2
        .value_kind:     hidden_remainder_y
      - .offset:         94
        .size:           2
        .value_kind:     hidden_remainder_z
      - .offset:         112
        .size:           8
        .value_kind:     hidden_global_offset_x
      - .offset:         120
        .size:           8
        .value_kind:     hidden_global_offset_y
      - .offset:         128
        .size:           8
        .value_kind:     hidden_global_offset_z
      - .offset:         136
        .size:           2
        .value_kind:     hidden_grid_dims
    .group_segment_fixed_size: 0
    .kernarg_segment_align: 8
    .kernarg_segment_size: 328
    .language:       OpenCL C
    .language_version:
      - 2
      - 0
    .max_flat_workgroup_size: 1024
    .name:           _ZN9rocsolver6v33100L8copy_matI19rocblas_complex_numIdEPKPS3_NS0_9info_maskEEEvNS0_17copymat_directionEiiT0_iilPT_T1_13rocblas_fill_17rocblas_diagonal_
    .private_segment_fixed_size: 0
    .sgpr_count:     20
    .sgpr_spill_count: 0
    .symbol:         _ZN9rocsolver6v33100L8copy_matI19rocblas_complex_numIdEPKPS3_NS0_9info_maskEEEvNS0_17copymat_directionEiiT0_iilPT_T1_13rocblas_fill_17rocblas_diagonal_.kd
    .uniform_work_group_size: 1
    .uses_dynamic_stack: false
    .vgpr_count:     8
    .vgpr_spill_count: 0
    .wavefront_size: 32
  - .args:
      - .offset:         0
        .size:           4
        .value_kind:     by_value
      - .offset:         4
        .size:           4
        .value_kind:     by_value
      - .offset:         8
        .size:           4
        .value_kind:     by_value
      - .address_space:  global
        .offset:         16
        .size:           8
        .value_kind:     global_buffer
      - .offset:         24
        .size:           4
        .value_kind:     by_value
      - .offset:         28
        .size:           4
        .value_kind:     by_value
      - .offset:         32
        .size:           8
        .value_kind:     by_value
      - .address_space:  global
        .offset:         40
        .size:           8
        .value_kind:     global_buffer
      - .offset:         48
        .size:           4
        .value_kind:     hidden_block_count_x
      - .offset:         52
        .size:           4
        .value_kind:     hidden_block_count_y
      - .offset:         56
        .size:           4
        .value_kind:     hidden_block_count_z
      - .offset:         60
        .size:           2
        .value_kind:     hidden_group_size_x
      - .offset:         62
        .size:           2
        .value_kind:     hidden_group_size_y
      - .offset:         64
        .size:           2
        .value_kind:     hidden_group_size_z
      - .offset:         66
        .size:           2
        .value_kind:     hidden_remainder_x
      - .offset:         68
        .size:           2
        .value_kind:     hidden_remainder_y
      - .offset:         70
        .size:           2
        .value_kind:     hidden_remainder_z
      - .offset:         88
        .size:           8
        .value_kind:     hidden_global_offset_x
      - .offset:         96
        .size:           8
        .value_kind:     hidden_global_offset_y
      - .offset:         104
        .size:           8
        .value_kind:     hidden_global_offset_z
      - .offset:         112
        .size:           2
        .value_kind:     hidden_grid_dims
    .group_segment_fixed_size: 0
    .kernarg_segment_align: 8
    .kernarg_segment_size: 304
    .language:       OpenCL C
    .language_version:
      - 2
      - 0
    .max_flat_workgroup_size: 1024
    .name:           _ZN9rocsolver6v33100L13gels_set_zeroI19rocblas_complex_numIdEPKPS3_EEviiiT0_iilPKi
    .private_segment_fixed_size: 0
    .sgpr_count:     14
    .sgpr_spill_count: 0
    .symbol:         _ZN9rocsolver6v33100L13gels_set_zeroI19rocblas_complex_numIdEPKPS3_EEviiiT0_iilPKi.kd
    .uniform_work_group_size: 1
    .uses_dynamic_stack: false
    .vgpr_count:     6
    .vgpr_spill_count: 0
    .wavefront_size: 32
amdhsa.target:   amdgcn-amd-amdhsa--gfx1250
amdhsa.version:
  - 1
  - 2
...

	.end_amdgpu_metadata
